;; amdgpu-corpus repo=ROCm/rocFFT kind=compiled arch=gfx1030 opt=O3
	.text
	.amdgcn_target "amdgcn-amd-amdhsa--gfx1030"
	.amdhsa_code_object_version 6
	.protected	bluestein_single_fwd_len1632_dim1_dp_op_CI_CI ; -- Begin function bluestein_single_fwd_len1632_dim1_dp_op_CI_CI
	.globl	bluestein_single_fwd_len1632_dim1_dp_op_CI_CI
	.p2align	8
	.type	bluestein_single_fwd_len1632_dim1_dp_op_CI_CI,@function
bluestein_single_fwd_len1632_dim1_dp_op_CI_CI: ; @bluestein_single_fwd_len1632_dim1_dp_op_CI_CI
; %bb.0:
	v_mul_u32_u24_e32 v1, 0x283, v0
	s_mov_b64 s[62:63], s[2:3]
	s_mov_b64 s[60:61], s[0:1]
	s_load_dwordx4 s[0:3], s[4:5], 0x28
	s_add_u32 s60, s60, s7
	v_lshrrev_b32_e32 v1, 16, v1
	s_addc_u32 s61, s61, 0
	v_mov_b32_e32 v4, 0
	v_add_nc_u32_e32 v3, s6, v1
	v_mov_b32_e32 v2, v3
	buffer_store_dword v2, off, s[60:63], 0 ; 4-byte Folded Spill
	buffer_store_dword v3, off, s[60:63], 0 offset:4 ; 4-byte Folded Spill
	s_waitcnt lgkmcnt(0)
	v_cmp_gt_u64_e32 vcc_lo, s[0:1], v[3:4]
	s_and_saveexec_b32 s0, vcc_lo
	s_cbranch_execz .LBB0_23
; %bb.1:
	v_mul_lo_u16 v1, 0x66, v1
	s_clause 0x1
	s_load_dwordx2 s[12:13], s[4:5], 0x0
	s_load_dwordx2 s[14:15], s[4:5], 0x38
	v_sub_nc_u16 v0, v0, v1
	v_and_b32_e32 v180, 0xffff, v0
	v_cmp_gt_u16_e32 vcc_lo, 0x60, v0
	v_or_b32_e32 v0, 0x180, v180
	v_lshlrev_b32_e32 v94, 4, v180
	buffer_store_dword v0, off, s[60:63], 0 offset:504 ; 4-byte Folded Spill
	v_or_b32_e32 v0, 0x300, v180
	buffer_store_dword v0, off, s[60:63], 0 offset:500 ; 4-byte Folded Spill
	v_or_b32_e32 v0, 0x480, v180
	;; [unrolled: 2-line block ×3, first 2 shown]
	buffer_store_dword v0, off, s[60:63], 0 offset:492 ; 4-byte Folded Spill
	s_and_saveexec_b32 s6, vcc_lo
	s_cbranch_execz .LBB0_3
; %bb.2:
	s_load_dwordx2 s[0:1], s[4:5], 0x18
	s_waitcnt lgkmcnt(0)
	v_add_co_u32 v24, s7, s12, v94
	v_add_co_ci_u32_e64 v25, null, s13, 0, s7
	s_clause 0x1
	global_load_dwordx4 v[0:3], v94, s[12:13]
	global_load_dwordx4 v[4:7], v94, s[12:13] offset:1536
	v_or_b32_e32 v35, 0x180, v180
	v_or_b32_e32 v72, 0x300, v180
	;; [unrolled: 1-line block ×4, first 2 shown]
	v_lshlrev_b32_e32 v8, 4, v35
	v_lshlrev_b32_e32 v95, 4, v92
	global_load_dwordx4 v[8:11], v8, s[12:13]
	s_load_dwordx4 s[8:11], s[0:1], 0x0
	v_add_co_u32 v12, s0, 0x800, v24
	v_add_co_ci_u32_e64 v13, s0, 0, v25, s0
	v_add_co_u32 v14, s0, 0x1000, v24
	v_add_co_ci_u32_e64 v15, s0, 0, v25, s0
	;; [unrolled: 2-line block ×3, first 2 shown]
	s_clause 0x2
	global_load_dwordx4 v[20:23], v[12:13], off offset:1024
	global_load_dwordx4 v[16:19], v[14:15], off offset:512
	;; [unrolled: 1-line block ×3, first 2 shown]
	s_clause 0x1
	buffer_load_dword v26, off, s[60:63], 0
	buffer_load_dword v27, off, s[60:63], 0 offset:4
	v_add_co_u32 v54, s0, 0x2000, v24
	v_add_co_ci_u32_e64 v55, s0, 0, v25, s0
	s_waitcnt lgkmcnt(0)
	v_mad_u64_u32 v[28:29], null, s8, v180, 0
	v_mad_u64_u32 v[62:63], null, s8, v72, 0
	;; [unrolled: 1-line block ×3, first 2 shown]
	s_mul_i32 s0, s9, 0x600
	s_mul_i32 s1, s8, 0x600
	v_mad_u64_u32 v[82:83], null, s8, v93, 0
	s_mul_i32 s16, s9, 0xc00
	s_mul_hi_u32 s17, s8, 0xc00
	s_mul_i32 s7, s8, 0xc00
	v_mad_u64_u32 v[84:85], null, s8, v92, 0
	v_mov_b32_e32 v70, v83
	v_mad_u64_u32 v[70:71], null, s9, v93, v[70:71]
	v_mov_b32_e32 v71, v85
	v_mov_b32_e32 v83, v70
	v_lshlrev_b64 v[82:83], 4, v[82:83]
	s_waitcnt vmcnt(1)
	v_mov_b32_e32 v33, v26
	s_waitcnt vmcnt(0)
	v_mad_u64_u32 v[26:27], null, s10, v33, 0
	s_mul_hi_u32 s10, s8, 0x600
	s_add_i32 s10, s10, s0
	v_mad_u64_u32 v[32:33], null, s11, v33, v[27:28]
	v_mov_b32_e32 v27, v63
	v_mad_u64_u32 v[33:34], null, s9, v180, v[29:30]
	s_add_i32 s11, s17, s16
	v_mad_u64_u32 v[34:35], null, s9, v35, v[31:32]
	v_mad_u64_u32 v[35:36], null, s9, v72, v[27:28]
	v_mov_b32_e32 v27, v32
	v_mov_b32_e32 v29, v33
	v_lshlrev_b32_e32 v72, 4, v72
	v_mov_b32_e32 v31, v34
	v_lshlrev_b64 v[26:27], 4, v[26:27]
	v_lshlrev_b64 v[28:29], 4, v[28:29]
	v_mov_b32_e32 v63, v35
	v_mad_u64_u32 v[88:89], null, s9, v92, v[71:72]
	v_add_co_u32 v90, s0, s2, v26
	v_add_co_ci_u32_e64 v91, s0, s3, v27, s0
	v_lshlrev_b64 v[26:27], 4, v[30:31]
	v_add_co_u32 v30, s0, v90, v28
	v_add_co_ci_u32_e64 v31, s0, v91, v29, s0
	v_lshlrev_b64 v[68:69], 4, v[62:63]
	v_add_co_u32 v26, s0, v90, v26
	v_add_co_ci_u32_e64 v27, s0, v91, v27, s0
	v_add_co_u32 v34, s0, v30, s1
	v_add_co_ci_u32_e64 v35, s0, s10, v31, s0
	v_mov_b32_e32 v85, v88
	v_add_co_u32 v38, s0, v34, s1
	v_add_co_ci_u32_e64 v39, s0, s10, v35, s0
	v_lshlrev_b64 v[84:85], 4, v[84:85]
	v_add_co_u32 v42, s0, v38, s1
	v_add_co_ci_u32_e64 v43, s0, s10, v39, s0
	global_load_dwordx4 v[26:29], v[26:27], off
	v_add_co_u32 v46, s0, v42, s7
	v_add_co_ci_u32_e64 v47, s0, s11, v43, s0
	s_clause 0x1
	global_load_dwordx4 v[30:33], v[30:31], off
	global_load_dwordx4 v[34:37], v[34:35], off
	v_add_co_u32 v50, s0, v46, s1
	v_add_co_ci_u32_e64 v51, s0, s10, v47, s0
	s_clause 0x1
	global_load_dwordx4 v[38:41], v[38:39], off
	global_load_dwordx4 v[42:45], v[42:43], off
	v_add_co_u32 v66, s0, v50, s1
	v_add_co_ci_u32_e64 v67, s0, s10, v51, s0
	v_add_co_u32 v64, s0, 0x2800, v24
	v_add_co_ci_u32_e64 v65, s0, 0, v25, s0
	;; [unrolled: 2-line block ×8, first 2 shown]
	global_load_dwordx4 v[46:49], v[46:47], off
	global_load_dwordx4 v[50:53], v[50:51], off
	global_load_dwordx4 v[54:57], v[54:55], off offset:1024
	global_load_dwordx4 v[58:61], v[66:67], off
	global_load_dwordx4 v[62:65], v[64:65], off offset:512
	global_load_dwordx4 v[66:69], v[68:69], off
	global_load_dwordx4 v[70:73], v72, s[12:13]
	global_load_dwordx4 v[74:77], v[86:87], off
	global_load_dwordx4 v[78:81], v[78:79], off offset:1536
	v_lshlrev_b32_e32 v86, 4, v93
	v_add_co_u32 v104, s0, 0x3800, v24
	v_add_co_ci_u32_e64 v105, s0, 0, v25, s0
	v_add_co_u32 v108, s0, v100, s1
	global_load_dwordx4 v[82:85], v[82:83], off
	global_load_dwordx4 v[86:89], v86, s[12:13]
	global_load_dwordx4 v[90:93], v[90:91], off
	global_load_dwordx4 v[96:99], v95, s[12:13]
	v_add_co_ci_u32_e64 v109, s0, s10, v101, s0
	v_add_co_u32 v112, s0, 0x4000, v24
	v_add_co_ci_u32_e64 v113, s0, 0, v25, s0
	v_add_co_u32 v120, s0, v108, s7
	;; [unrolled: 2-line block ×7, first 2 shown]
	global_load_dwordx4 v[100:103], v[100:101], off
	global_load_dwordx4 v[104:107], v[104:105], off offset:1024
	global_load_dwordx4 v[108:111], v[108:109], off
	global_load_dwordx4 v[112:115], v[112:113], off offset:512
	global_load_dwordx4 v[116:119], v[120:121], off
	v_add_co_ci_u32_e64 v137, s0, s10, v125, s0
	global_load_dwordx4 v[120:123], v[122:123], off offset:1536
	global_load_dwordx4 v[124:127], v[124:125], off
	s_clause 0x1
	global_load_dwordx4 v[128:131], v[128:129], off offset:1024
	global_load_dwordx4 v[132:135], v[24:25], off offset:512
	global_load_dwordx4 v[136:139], v[136:137], off
	s_waitcnt vmcnt(27)
	v_mul_f64 v[140:141], v[28:29], v[10:11]
	v_mul_f64 v[10:11], v[26:27], v[10:11]
	s_waitcnt vmcnt(26)
	v_mul_f64 v[24:25], v[32:33], v[2:3]
	v_mul_f64 v[2:3], v[30:31], v[2:3]
	;; [unrolled: 3-line block ×5, first 2 shown]
	v_fma_f64 v[22:23], v[30:31], v[0:1], v[24:25]
	v_fma_f64 v[24:25], v[32:33], v[0:1], -v[2:3]
	v_fma_f64 v[30:31], v[34:35], v[4:5], v[148:149]
	v_fma_f64 v[32:33], v[36:37], v[4:5], -v[150:151]
	v_fma_f64 v[0:1], v[26:27], v[8:9], v[140:141]
	v_fma_f64 v[2:3], v[28:29], v[8:9], -v[10:11]
	v_fma_f64 v[18:19], v[38:39], v[20:21], v[152:153]
	v_fma_f64 v[20:21], v[40:41], v[20:21], -v[154:155]
	s_waitcnt vmcnt(22)
	v_mul_f64 v[160:161], v[48:49], v[14:15]
	s_waitcnt vmcnt(16)
	v_mul_f64 v[142:143], v[68:69], v[72:73]
	v_mul_f64 v[72:73], v[66:67], v[72:73]
	;; [unrolled: 1-line block ×5, first 2 shown]
	v_fma_f64 v[14:15], v[42:43], v[16:17], v[156:157]
	v_fma_f64 v[16:17], v[44:45], v[16:17], -v[158:159]
	s_waitcnt vmcnt(12)
	v_mul_f64 v[144:145], v[84:85], v[88:89]
	v_mul_f64 v[88:89], v[82:83], v[88:89]
	s_waitcnt vmcnt(10)
	v_mul_f64 v[146:147], v[92:93], v[98:99]
	v_mul_f64 v[98:99], v[90:91], v[98:99]
	v_fma_f64 v[34:35], v[46:47], v[12:13], v[160:161]
	v_fma_f64 v[6:7], v[66:67], v[70:71], v[142:143]
	v_mul_f64 v[66:67], v[52:53], v[56:57]
	v_mul_f64 v[56:57], v[50:51], v[56:57]
	v_fma_f64 v[8:9], v[68:69], v[70:71], -v[72:73]
	v_mul_f64 v[68:69], v[76:77], v[80:81]
	v_mul_f64 v[70:71], v[74:75], v[80:81]
	v_fma_f64 v[36:37], v[48:49], v[12:13], -v[162:163]
	v_fma_f64 v[42:43], v[58:59], v[62:63], v[4:5]
	v_fma_f64 v[26:27], v[82:83], v[86:87], v[144:145]
	v_fma_f64 v[28:29], v[84:85], v[86:87], -v[88:89]
	v_fma_f64 v[10:11], v[90:91], v[96:97], v[146:147]
	v_fma_f64 v[44:45], v[60:61], v[62:63], -v[64:65]
	v_fma_f64 v[12:13], v[92:93], v[96:97], -v[98:99]
	s_waitcnt vmcnt(8)
	v_mul_f64 v[72:73], v[102:103], v[106:107]
	v_mul_f64 v[80:81], v[100:101], v[106:107]
	s_waitcnt vmcnt(6)
	v_mul_f64 v[82:83], v[110:111], v[114:115]
	v_mul_f64 v[84:85], v[108:109], v[114:115]
	;; [unrolled: 3-line block ×5, first 2 shown]
	v_fma_f64 v[38:39], v[50:51], v[54:55], v[66:67]
	v_fma_f64 v[40:41], v[52:53], v[54:55], -v[56:57]
	v_fma_f64 v[46:47], v[74:75], v[78:79], v[68:69]
	v_fma_f64 v[48:49], v[76:77], v[78:79], -v[70:71]
	;; [unrolled: 2-line block ×7, first 2 shown]
	ds_write_b128 v94, v[22:25]
	ds_write_b128 v94, v[0:3] offset:6144
	ds_write_b128 v94, v[6:9] offset:12288
	;; [unrolled: 1-line block ×16, first 2 shown]
.LBB0_3:
	s_or_b32 exec_lo, exec_lo, s6
	s_clause 0x1
	s_load_dwordx2 s[0:1], s[4:5], 0x20
	s_load_dwordx2 s[2:3], s[4:5], 0x8
	s_waitcnt lgkmcnt(0)
	s_waitcnt_vscnt null, 0x0
	s_barrier
	buffer_gl0_inv
                                        ; implicit-def: $vgpr4_vgpr5
                                        ; implicit-def: $vgpr60_vgpr61
                                        ; implicit-def: $vgpr48_vgpr49
                                        ; implicit-def: $vgpr40_vgpr41
                                        ; implicit-def: $vgpr36_vgpr37
                                        ; implicit-def: $vgpr28_vgpr29
                                        ; implicit-def: $vgpr16_vgpr17
                                        ; implicit-def: $vgpr8_vgpr9
                                        ; implicit-def: $vgpr0_vgpr1
                                        ; implicit-def: $vgpr12_vgpr13
                                        ; implicit-def: $vgpr20_vgpr21
                                        ; implicit-def: $vgpr24_vgpr25
                                        ; implicit-def: $vgpr32_vgpr33
                                        ; implicit-def: $vgpr44_vgpr45
                                        ; implicit-def: $vgpr52_vgpr53
                                        ; implicit-def: $vgpr56_vgpr57
                                        ; implicit-def: $vgpr64_vgpr65
	s_and_saveexec_b32 s4, vcc_lo
	s_cbranch_execz .LBB0_5
; %bb.4:
	ds_read_b128 v[4:7], v94
	ds_read_b128 v[64:67], v94 offset:1536
	ds_read_b128 v[60:63], v94 offset:3072
	;; [unrolled: 1-line block ×16, first 2 shown]
.LBB0_5:
	s_or_b32 exec_lo, exec_lo, s4
	s_waitcnt lgkmcnt(0)
	v_add_f64 v[164:165], v[66:67], -v[2:3]
	v_add_f64 v[160:161], v[64:65], -v[0:1]
	s_mov_b32 s4, 0x5d8e7cdc
	s_mov_b32 s5, 0xbfd71e95
	v_add_f64 v[156:157], v[0:1], v[64:65]
	v_add_f64 v[166:167], v[2:3], v[66:67]
	v_add_f64 v[106:107], v[62:63], -v[10:11]
	v_add_f64 v[70:71], v[60:61], -v[8:9]
	s_mov_b32 s6, 0x370991
	s_mov_b32 s18, 0x2a9d6da3
	;; [unrolled: 1-line block ×4, first 2 shown]
	v_add_f64 v[68:69], v[60:61], v[8:9]
	v_add_f64 v[108:109], v[62:63], v[10:11]
	v_add_f64 v[104:105], v[58:59], -v[14:15]
	v_add_f64 v[74:75], v[56:57], -v[12:13]
	s_mov_b32 s8, 0x75d4884
	s_mov_b32 s10, 0x7c9e640b
	;; [unrolled: 1-line block ×4, first 2 shown]
	v_add_f64 v[72:73], v[12:13], v[56:57]
	v_add_f64 v[118:119], v[14:15], v[58:59]
	v_mul_f64 v[158:159], v[164:165], s[4:5]
	v_mul_f64 v[162:163], v[160:161], s[4:5]
	v_add_f64 v[88:89], v[52:53], -v[16:17]
	v_add_f64 v[110:111], v[54:55], -v[18:19]
	s_mov_b32 s16, 0x2b2883cd
	s_mov_b32 s20, 0xeb564b22
	v_mul_f64 v[174:175], v[106:107], s[18:19]
	v_mul_f64 v[98:99], v[70:71], s[18:19]
	s_mov_b32 s17, 0x3fdc86fa
	s_mov_b32 s21, 0xbfefdd0d
	v_add_f64 v[132:133], v[18:19], v[54:55]
	v_add_f64 v[102:103], v[50:51], -v[22:23]
	s_mov_b32 s22, 0x3259b75e
	s_mov_b32 s24, 0x923c349f
	v_mul_f64 v[100:101], v[104:105], s[10:11]
	v_mul_f64 v[120:121], v[74:75], s[10:11]
	s_mov_b32 s23, 0x3fb79ee6
	s_mov_b32 s25, 0xbfeec746
	v_add_f64 v[134:135], v[50:51], v[22:23]
	v_add_f64 v[126:127], v[46:47], -v[26:27]
	s_mov_b32 s26, 0xc61f0d01
	s_mov_b32 s34, 0x6c9a05f6
	v_fma_f64 v[76:77], v[156:157], s[6:7], v[158:159]
	v_fma_f64 v[78:79], v[166:167], s[6:7], -v[162:163]
	v_mul_f64 v[124:125], v[88:89], s[20:21]
	v_mul_f64 v[116:117], v[110:111], s[20:21]
	s_mov_b32 s27, 0xbfd183b1
	s_mov_b32 s35, 0xbfe9895b
	v_fma_f64 v[80:81], v[68:69], s[8:9], v[174:175]
	v_fma_f64 v[82:83], v[108:109], s[8:9], -v[98:99]
	v_add_f64 v[146:147], v[26:27], v[46:47]
	v_add_f64 v[140:141], v[42:43], -v[30:31]
	s_mov_b32 s36, 0x6ed5f1bb
	v_mul_f64 v[122:123], v[102:103], s[24:25]
	s_mov_b32 s28, 0x4363dd80
	s_mov_b32 s37, 0xbfe348c8
	v_fma_f64 v[90:91], v[72:73], s[16:17], v[100:101]
	v_fma_f64 v[92:93], v[118:119], s[16:17], -v[120:121]
	s_mov_b32 s29, 0xbfe0d888
	v_add_f64 v[152:153], v[42:43], v[30:31]
	v_add_f64 v[150:151], v[38:39], -v[34:35]
	v_mul_f64 v[130:131], v[126:127], s[34:35]
	s_mov_b32 s30, 0x910ea3b9
	s_mov_b32 s40, 0xacd6c6b4
	v_add_f64 v[84:85], v[4:5], v[76:77]
	v_add_f64 v[86:87], v[6:7], v[78:79]
	;; [unrolled: 1-line block ×3, first 2 shown]
	v_add_f64 v[78:79], v[48:49], -v[20:21]
	v_fma_f64 v[112:113], v[132:133], s[22:23], -v[124:125]
	s_mov_b32 s31, 0xbfeb34fa
	s_mov_b32 s41, 0xbfc7851a
	v_add_f64 v[154:155], v[38:39], v[34:35]
	s_mov_b32 s38, 0x7faef3
	v_mul_f64 v[142:143], v[140:141], s[28:29]
	s_mov_b32 s39, 0xbfef7484
	s_barrier
	buffer_gl0_inv
	v_add_f64 v[84:85], v[80:81], v[84:85]
	v_add_f64 v[86:87], v[82:83], v[86:87]
	;; [unrolled: 1-line block ×3, first 2 shown]
	v_add_f64 v[80:81], v[44:45], -v[24:25]
	v_mul_f64 v[128:129], v[78:79], s[24:25]
	v_fma_f64 v[96:97], v[76:77], s[22:23], v[116:117]
	v_add_f64 v[90:91], v[90:91], v[84:85]
	v_add_f64 v[92:93], v[92:93], v[86:87]
	;; [unrolled: 1-line block ×3, first 2 shown]
	v_add_f64 v[86:87], v[40:41], -v[28:29]
	v_mul_f64 v[136:137], v[80:81], s[34:35]
	v_fma_f64 v[114:115], v[82:83], s[26:27], v[122:123]
	v_fma_f64 v[138:139], v[134:135], s[26:27], -v[128:129]
	v_add_f64 v[96:97], v[96:97], v[90:91]
	v_add_f64 v[112:113], v[112:113], v[92:93]
	;; [unrolled: 1-line block ×3, first 2 shown]
	v_add_f64 v[90:91], v[36:37], -v[32:33]
	v_mul_f64 v[148:149], v[86:87], s[28:29]
	v_fma_f64 v[168:169], v[84:85], s[36:37], v[130:131]
	v_fma_f64 v[170:171], v[146:147], s[36:37], -v[136:137]
	v_add_f64 v[114:115], v[114:115], v[96:97]
	v_add_f64 v[112:113], v[138:139], v[112:113]
	v_add_f64 v[96:97], v[36:37], v[32:33]
	v_mul_f64 v[138:139], v[150:151], s[40:41]
	v_mul_f64 v[144:145], v[90:91], s[40:41]
	v_fma_f64 v[172:173], v[92:93], s[30:31], v[142:143]
	v_fma_f64 v[176:177], v[152:153], s[30:31], -v[148:149]
	v_add_f64 v[114:115], v[168:169], v[114:115]
	v_add_f64 v[112:113], v[170:171], v[112:113]
	v_fma_f64 v[168:169], v[96:97], s[38:39], v[138:139]
	v_fma_f64 v[170:171], v[154:155], s[38:39], -v[144:145]
	v_add_f64 v[114:115], v[172:173], v[114:115]
	v_add_f64 v[172:173], v[176:177], v[112:113]
	;; [unrolled: 1-line block ×4, first 2 shown]
	s_mov_b32 s33, exec_lo
	s_and_b32 s42, s33, vcc_lo
	buffer_store_dword v180, off, s[60:63], 0 offset:8 ; 4-byte Folded Spill
	s_mov_b32 exec_lo, s42
	s_cbranch_execz .LBB0_7
; %bb.6:
	v_mul_f64 v[172:173], v[166:167], s[38:39]
	s_mov_b32 s45, 0x3fc7851a
	s_mov_b32 s44, s40
	v_mul_f64 v[170:171], v[164:165], s[40:41]
	v_mul_f64 v[168:169], v[108:109], s[6:7]
	s_mov_b32 s43, 0x3fd71e95
	s_mov_b32 s42, s4
	v_add_f64 v[66:67], v[6:7], v[66:67]
	v_add_f64 v[64:65], v[4:5], v[64:65]
	v_mul_f64 v[176:177], v[118:119], s[30:31]
	v_mul_f64 v[190:191], v[106:107], s[42:43]
	s_mov_b32 s47, 0x3fe0d888
	s_mov_b32 s46, s28
	v_mul_f64 v[178:179], v[104:105], s[28:29]
	v_mul_f64 v[180:181], v[132:133], s[8:9]
	;; [unrolled: 1-line block ×4, first 2 shown]
	s_mov_b32 s53, 0x3fe58eea
	s_mov_b32 s52, s18
	;; [unrolled: 1-line block ×4, first 2 shown]
	v_mul_f64 v[182:183], v[134:135], s[36:37]
	v_fma_f64 v[188:189], v[160:161], s[44:45], v[172:173]
	v_fma_f64 v[172:173], v[160:161], s[40:41], v[172:173]
	v_mul_f64 v[204:205], v[108:109], s[16:17]
	v_fma_f64 v[192:193], v[156:157], s[38:39], v[170:171]
	v_fma_f64 v[214:215], v[70:71], s[4:5], v[168:169]
	v_fma_f64 v[170:171], v[156:157], s[38:39], -v[170:171]
	v_fma_f64 v[168:169], v[70:71], s[42:43], v[168:169]
	v_add_f64 v[62:63], v[62:63], v[66:67]
	v_add_f64 v[60:61], v[60:61], v[64:65]
	v_fma_f64 v[240:241], v[74:75], s[46:47], v[176:177]
	v_fma_f64 v[216:217], v[68:69], s[6:7], v[190:191]
	v_mul_f64 v[224:225], v[166:167], s[36:37]
	v_mul_f64 v[232:233], v[164:165], s[34:35]
	;; [unrolled: 1-line block ×3, first 2 shown]
	v_fma_f64 v[176:177], v[74:75], s[28:29], v[176:177]
	v_fma_f64 v[230:231], v[160:161], s[46:47], v[200:201]
	;; [unrolled: 1-line block ×5, first 2 shown]
	s_mov_b32 s57, 0x3fe9895b
	s_mov_b32 s56, s34
	;; [unrolled: 1-line block ×3, first 2 shown]
	v_add_f64 v[188:189], v[6:7], v[188:189]
	v_add_f64 v[172:173], v[6:7], v[172:173]
	s_mov_b32 s54, s24
	v_add_f64 v[192:193], v[4:5], v[192:193]
	v_mul_f64 v[184:185], v[102:103], s[34:35]
	v_add_f64 v[170:171], v[4:5], v[170:171]
	v_mul_f64 v[186:187], v[146:147], s[16:17]
	v_add_f64 v[58:59], v[58:59], v[62:63]
	v_add_f64 v[56:57], v[56:57], v[60:61]
	v_fma_f64 v[62:63], v[68:69], s[6:7], -v[190:191]
	v_mul_f64 v[206:207], v[118:119], s[22:23]
	v_mul_f64 v[208:209], v[104:105], s[20:21]
	;; [unrolled: 1-line block ×3, first 2 shown]
	v_fma_f64 v[246:247], v[70:71], s[10:11], v[204:205]
	v_mul_f64 v[248:249], v[106:107], s[54:55]
	v_add_f64 v[230:231], v[6:7], v[230:231]
	v_fma_f64 v[204:205], v[70:71], s[48:49], v[204:205]
	v_add_f64 v[242:243], v[4:5], v[242:243]
	v_fma_f64 v[202:203], v[156:157], s[30:31], -v[202:203]
	v_add_f64 v[200:201], v[6:7], v[200:201]
	s_mov_b32 s51, 0x3fefdd0d
	s_mov_b32 s50, s20
	v_add_f64 v[188:189], v[214:215], v[188:189]
	v_fma_f64 v[214:215], v[72:73], s[30:31], v[178:179]
	v_add_f64 v[168:169], v[168:169], v[172:173]
	v_add_f64 v[192:193], v[216:217], v[192:193]
	v_mul_f64 v[216:217], v[106:107], s[48:49]
	v_fma_f64 v[178:179], v[72:73], s[30:31], -v[178:179]
	v_mul_f64 v[194:195], v[152:153], s[26:27]
	v_add_f64 v[54:55], v[54:55], v[58:59]
	v_add_f64 v[52:53], v[52:53], v[56:57]
	v_fma_f64 v[56:57], v[78:79], s[56:57], v[182:183]
	v_fma_f64 v[58:59], v[160:161], s[56:57], v[224:225]
	v_add_f64 v[62:63], v[62:63], v[170:171]
	v_fma_f64 v[170:171], v[88:89], s[52:53], v[180:181]
	v_fma_f64 v[180:181], v[156:157], s[36:37], v[232:233]
	;; [unrolled: 1-line block ×3, first 2 shown]
	v_fma_f64 v[232:233], v[156:157], s[36:37], -v[232:233]
	v_mul_f64 v[210:211], v[132:133], s[36:37]
	v_mul_f64 v[66:67], v[118:119], s[6:7]
	;; [unrolled: 1-line block ×5, first 2 shown]
	v_add_f64 v[230:231], v[246:247], v[230:231]
	v_add_f64 v[188:189], v[240:241], v[188:189]
	v_fma_f64 v[240:241], v[76:77], s[8:9], v[238:239]
	v_add_f64 v[168:169], v[176:177], v[168:169]
	v_add_f64 v[192:193], v[214:215], v[192:193]
	v_fma_f64 v[214:215], v[68:69], s[16:17], v[216:217]
	v_fma_f64 v[246:247], v[82:83], s[36:37], v[184:185]
	;; [unrolled: 1-line block ×4, first 2 shown]
	v_fma_f64 v[216:217], v[68:69], s[16:17], -v[216:217]
	v_add_f64 v[202:203], v[4:5], v[202:203]
	v_add_f64 v[200:201], v[204:205], v[200:201]
	v_fma_f64 v[204:205], v[70:71], s[24:25], v[64:65]
	v_add_f64 v[58:59], v[6:7], v[58:59]
	v_add_f64 v[62:63], v[178:179], v[62:63]
	v_fma_f64 v[178:179], v[68:69], s[26:27], v[248:249]
	v_add_f64 v[180:181], v[4:5], v[180:181]
	v_fma_f64 v[64:65], v[70:71], s[54:55], v[64:65]
	v_add_f64 v[224:225], v[6:7], v[224:225]
	v_fma_f64 v[248:249], v[68:69], s[26:27], -v[248:249]
	v_add_f64 v[232:233], v[4:5], v[232:233]
	v_fma_f64 v[238:239], v[76:77], s[8:9], -v[238:239]
	v_mul_f64 v[196:197], v[140:141], s[24:25]
	v_add_f64 v[188:189], v[250:251], v[188:189]
	v_mul_f64 v[198:199], v[154:155], s[22:23]
	v_add_f64 v[168:169], v[170:171], v[168:169]
	v_add_f64 v[192:193], v[240:241], v[192:193]
	;; [unrolled: 1-line block ×3, first 2 shown]
	v_fma_f64 v[242:243], v[74:75], s[50:51], v[206:207]
	v_fma_f64 v[170:171], v[72:73], s[22:23], v[208:209]
	;; [unrolled: 1-line block ×3, first 2 shown]
	v_mul_f64 v[212:213], v[134:135], s[6:7]
	v_mul_f64 v[218:219], v[102:103], s[4:5]
	v_mul_f64 v[226:227], v[132:133], s[30:31]
	v_mul_f64 v[236:237], v[110:111], s[28:29]
	v_fma_f64 v[184:185], v[82:83], s[36:37], -v[184:185]
	v_fma_f64 v[250:251], v[86:87], s[54:55], v[194:195]
	v_fma_f64 v[186:187], v[80:81], s[48:49], v[186:187]
	v_fma_f64 v[208:209], v[72:73], s[22:23], -v[208:209]
	v_add_f64 v[202:203], v[216:217], v[202:203]
	v_fma_f64 v[216:217], v[74:75], s[42:43], v[66:67]
	v_add_f64 v[58:59], v[204:205], v[58:59]
	v_fma_f64 v[204:205], v[72:73], s[6:7], v[234:235]
	;; [unrolled: 2-line block ×4, first 2 shown]
	v_add_f64 v[64:65], v[64:65], v[224:225]
	v_add_f64 v[192:193], v[246:247], v[192:193]
	v_fma_f64 v[224:225], v[72:73], s[6:7], -v[234:235]
	v_add_f64 v[230:231], v[242:243], v[230:231]
	v_fma_f64 v[242:243], v[88:89], s[34:35], v[210:211]
	v_fma_f64 v[210:211], v[88:89], s[56:57], v[210:211]
	;; [unrolled: 1-line block ×3, first 2 shown]
	v_add_f64 v[232:233], v[248:249], v[232:233]
	v_add_f64 v[170:171], v[170:171], v[214:215]
	;; [unrolled: 1-line block ×5, first 2 shown]
	v_mul_f64 v[220:221], v[146:147], s[38:39]
	v_mul_f64 v[222:223], v[126:127], s[40:41]
	;; [unrolled: 1-line block ×4, first 2 shown]
	v_fma_f64 v[240:241], v[92:93], s[26:27], v[196:197]
	v_fma_f64 v[246:247], v[90:91], s[20:21], v[198:199]
	;; [unrolled: 1-line block ×3, first 2 shown]
	v_fma_f64 v[190:191], v[76:77], s[36:37], -v[190:191]
	v_add_f64 v[56:57], v[176:177], v[56:57]
	v_add_f64 v[200:201], v[208:209], v[202:203]
	v_fma_f64 v[202:203], v[88:89], s[46:47], v[226:227]
	v_add_f64 v[176:177], v[188:189], v[192:193]
	v_fma_f64 v[188:189], v[82:83], s[6:7], v[218:219]
	v_fma_f64 v[206:207], v[76:77], s[30:31], v[236:237]
	v_add_f64 v[192:193], v[242:243], v[230:231]
	v_fma_f64 v[208:209], v[88:89], s[28:29], v[226:227]
	v_add_f64 v[58:59], v[216:217], v[58:59]
	v_add_f64 v[178:179], v[204:205], v[178:179]
	v_fma_f64 v[204:205], v[76:77], s[30:31], -v[236:237]
	v_add_f64 v[64:65], v[66:67], v[64:65]
	v_add_f64 v[66:67], v[50:51], v[54:55]
	v_add_f64 v[226:227], v[48:49], v[52:53]
	v_add_f64 v[48:49], v[224:225], v[232:233]
	v_add_f64 v[50:51], v[234:235], v[170:171]
	v_add_f64 v[52:53], v[184:185], v[62:63]
	v_add_f64 v[62:63], v[186:187], v[168:169]
	v_add_f64 v[168:169], v[210:211], v[182:183]
	v_fma_f64 v[170:171], v[78:79], s[4:5], v[212:213]
	v_fma_f64 v[194:195], v[86:87], s[24:25], v[194:195]
	v_fma_f64 v[214:215], v[84:85], s[16:17], -v[244:245]
	v_add_f64 v[54:55], v[250:251], v[56:57]
	v_add_f64 v[182:183], v[190:191], v[200:201]
	v_fma_f64 v[184:185], v[82:83], s[6:7], -v[218:219]
	v_add_f64 v[56:57], v[240:241], v[176:177]
	v_fma_f64 v[176:177], v[92:93], s[26:27], -v[196:197]
	v_mul_f64 v[186:187], v[146:147], s[8:9]
	v_add_f64 v[180:181], v[180:181], v[192:193]
	v_fma_f64 v[190:191], v[78:79], s[20:21], v[228:229]
	v_add_f64 v[58:59], v[202:203], v[58:59]
	v_add_f64 v[178:179], v[206:207], v[178:179]
	v_fma_f64 v[192:193], v[82:83], s[22:23], v[172:173]
	v_mul_f64 v[196:197], v[126:127], s[18:19]
	v_fma_f64 v[200:201], v[80:81], s[44:45], v[220:221]
	v_add_f64 v[64:65], v[208:209], v[64:65]
	v_fma_f64 v[202:203], v[78:79], s[50:51], v[228:229]
	v_mul_f64 v[206:207], v[152:153], s[8:9]
	v_add_f64 v[48:49], v[204:205], v[48:49]
	v_fma_f64 v[172:173], v[82:83], s[22:23], -v[172:173]
	v_add_f64 v[188:189], v[188:189], v[50:51]
	v_fma_f64 v[204:205], v[84:85], s[38:39], v[222:223]
	v_mul_f64 v[208:209], v[140:141], s[52:53]
	v_mul_f64 v[60:61], v[150:151], s[50:51]
	v_add_f64 v[50:51], v[246:247], v[54:55]
	v_add_f64 v[54:55], v[170:171], v[168:169]
	v_fma_f64 v[168:169], v[80:81], s[40:41], v[220:221]
	v_add_f64 v[52:53], v[214:215], v[52:53]
	v_add_f64 v[62:63], v[194:195], v[62:63]
	v_fma_f64 v[170:171], v[90:91], s[50:51], v[198:199]
	v_add_f64 v[182:183], v[184:185], v[182:183]
	v_fma_f64 v[184:185], v[84:85], s[38:39], -v[222:223]
	v_fma_f64 v[194:195], v[80:81], s[52:53], v[186:187]
	v_add_f64 v[58:59], v[190:191], v[58:59]
	v_mul_f64 v[190:191], v[152:153], s[38:39]
	v_add_f64 v[178:179], v[192:193], v[178:179]
	v_fma_f64 v[192:193], v[84:85], s[8:9], v[196:197]
	v_add_f64 v[180:181], v[200:201], v[180:181]
	v_mul_f64 v[198:199], v[140:141], s[40:41]
	v_add_f64 v[64:65], v[202:203], v[64:65]
	v_fma_f64 v[186:187], v[80:81], s[18:19], v[186:187]
	v_fma_f64 v[200:201], v[86:87], s[18:19], v[206:207]
	v_add_f64 v[48:49], v[172:173], v[48:49]
	v_fma_f64 v[172:173], v[84:85], s[8:9], -v[196:197]
	v_add_f64 v[188:189], v[204:205], v[188:189]
	v_fma_f64 v[196:197], v[92:93], s[8:9], v[208:209]
	v_mul_f64 v[202:203], v[154:155], s[26:27]
	v_mul_f64 v[204:205], v[166:167], s[26:27]
	;; [unrolled: 1-line block ×3, first 2 shown]
	v_add_f64 v[54:55], v[168:169], v[54:55]
	v_fma_f64 v[168:169], v[86:87], s[52:53], v[206:207]
	v_mul_f64 v[206:207], v[164:165], s[24:25]
	v_fma_f64 v[216:217], v[96:97], s[22:23], v[60:61]
	v_add_f64 v[52:53], v[176:177], v[52:53]
	v_fma_f64 v[176:177], v[92:93], s[8:9], -v[208:209]
	v_add_f64 v[182:183], v[184:185], v[182:183]
	v_add_f64 v[58:59], v[194:195], v[58:59]
	v_fma_f64 v[184:185], v[86:87], s[44:45], v[190:191]
	v_add_f64 v[178:179], v[192:193], v[178:179]
	v_mul_f64 v[192:193], v[154:155], s[16:17]
	v_fma_f64 v[194:195], v[92:93], s[38:39], v[198:199]
	v_mul_f64 v[208:209], v[150:151], s[48:49]
	v_add_f64 v[64:65], v[186:187], v[64:65]
	v_fma_f64 v[186:187], v[86:87], s[40:41], v[190:191]
	v_add_f64 v[180:181], v[200:201], v[180:181]
	v_fma_f64 v[190:191], v[92:93], s[38:39], -v[198:199]
	v_mul_f64 v[200:201], v[108:109], s[30:31]
	v_add_f64 v[188:189], v[196:197], v[188:189]
	v_fma_f64 v[196:197], v[90:91], s[54:55], v[202:203]
	v_fma_f64 v[198:199], v[160:161], s[54:55], v[204:205]
	;; [unrolled: 1-line block ×4, first 2 shown]
	v_add_f64 v[168:169], v[168:169], v[54:55]
	v_add_f64 v[54:55], v[170:171], v[62:63]
	v_fma_f64 v[170:171], v[156:157], s[26:27], v[206:207]
	v_mul_f64 v[214:215], v[106:107], s[46:47]
	v_fma_f64 v[60:61], v[96:97], s[22:23], -v[60:61]
	v_add_f64 v[172:173], v[172:173], v[48:49]
	v_add_f64 v[48:49], v[216:217], v[56:57]
	v_fma_f64 v[210:211], v[96:97], s[26:27], -v[210:211]
	v_add_f64 v[176:177], v[176:177], v[182:183]
	v_add_f64 v[182:183], v[184:185], v[58:59]
	v_fma_f64 v[184:185], v[90:91], s[10:11], v[192:193]
	v_add_f64 v[178:179], v[194:195], v[178:179]
	v_fma_f64 v[194:195], v[96:97], s[16:17], v[208:209]
	;; [unrolled: 2-line block ×3, first 2 shown]
	v_fma_f64 v[192:193], v[96:97], s[16:17], -v[208:209]
	v_mul_f64 v[208:209], v[104:105], s[52:53]
	v_mul_f64 v[218:219], v[118:119], s[26:27]
	v_add_f64 v[58:59], v[196:197], v[180:181]
	v_add_f64 v[180:181], v[6:7], v[198:199]
	v_fma_f64 v[196:197], v[70:71], s[28:29], v[200:201]
	v_mul_f64 v[198:199], v[118:119], s[8:9]
	v_add_f64 v[56:57], v[212:213], v[188:189]
	v_add_f64 v[62:63], v[202:203], v[168:169]
	;; [unrolled: 1-line block ×5, first 2 shown]
	v_fma_f64 v[202:203], v[68:69], s[30:31], v[214:215]
	v_add_f64 v[52:53], v[60:61], v[52:53]
	v_add_f64 v[172:173], v[190:191], v[172:173]
	v_mul_f64 v[190:191], v[166:167], s[22:23]
	v_add_f64 v[60:61], v[210:211], v[176:177]
	v_fma_f64 v[176:177], v[160:161], s[24:25], v[204:205]
	v_add_f64 v[46:47], v[184:185], v[182:183]
	v_mul_f64 v[182:183], v[166:167], s[16:17]
	v_add_f64 v[44:45], v[194:195], v[178:179]
	v_mul_f64 v[178:179], v[166:167], s[8:9]
	v_mul_f64 v[184:185], v[164:165], s[20:21]
	v_mul_f64 v[166:167], v[166:167], s[6:7]
	v_add_f64 v[66:67], v[186:187], v[64:65]
	v_mul_f64 v[186:187], v[164:165], s[10:11]
	v_mul_f64 v[164:165], v[164:165], s[18:19]
	v_add_f64 v[180:181], v[196:197], v[180:181]
	v_fma_f64 v[194:195], v[74:75], s[18:19], v[198:199]
	v_mul_f64 v[196:197], v[132:133], s[16:17]
	v_fma_f64 v[200:201], v[70:71], s[46:47], v[200:201]
	v_add_f64 v[42:43], v[42:43], v[168:169]
	v_add_f64 v[40:41], v[40:41], v[188:189]
	v_mul_f64 v[188:189], v[110:111], s[10:11]
	v_add_f64 v[168:169], v[202:203], v[170:171]
	v_fma_f64 v[170:171], v[72:73], s[8:9], v[208:209]
	v_add_f64 v[64:65], v[192:193], v[172:173]
	v_fma_f64 v[172:173], v[160:161], s[50:51], v[190:191]
	v_fma_f64 v[192:193], v[156:157], s[26:27], -v[206:207]
	v_fma_f64 v[190:191], v[160:161], s[20:21], v[190:191]
	v_add_f64 v[176:177], v[6:7], v[176:177]
	v_fma_f64 v[202:203], v[160:161], s[48:49], v[182:183]
	v_mul_f64 v[204:205], v[156:157], s[6:7]
	v_fma_f64 v[182:183], v[160:161], s[10:11], v[182:183]
	v_fma_f64 v[206:207], v[156:157], s[22:23], v[184:185]
	;; [unrolled: 1-line block ×4, first 2 shown]
	v_mul_f64 v[178:179], v[108:109], s[38:39]
	v_add_f64 v[162:163], v[162:163], v[166:167]
	v_fma_f64 v[166:167], v[156:157], s[22:23], -v[184:185]
	v_fma_f64 v[184:185], v[156:157], s[16:17], v[186:187]
	v_add_f64 v[180:181], v[194:195], v[180:181]
	v_fma_f64 v[194:195], v[88:89], s[48:49], v[196:197]
	v_mul_f64 v[212:213], v[134:135], s[38:39]
	v_fma_f64 v[186:187], v[156:157], s[16:17], -v[186:187]
	v_fma_f64 v[216:217], v[156:157], s[8:9], v[164:165]
	v_fma_f64 v[156:157], v[156:157], s[8:9], -v[164:165]
	v_add_f64 v[164:165], v[170:171], v[168:169]
	v_fma_f64 v[168:169], v[76:77], s[16:17], v[188:189]
	v_mul_f64 v[170:171], v[102:103], s[40:41]
	v_add_f64 v[192:193], v[4:5], v[192:193]
	v_fma_f64 v[214:215], v[68:69], s[30:31], -v[214:215]
	v_add_f64 v[176:177], v[200:201], v[176:177]
	v_fma_f64 v[198:199], v[74:75], s[52:53], v[198:199]
	v_add_f64 v[158:159], v[204:205], -v[158:159]
	v_add_f64 v[172:173], v[6:7], v[172:173]
	v_add_f64 v[200:201], v[4:5], v[206:207]
	v_mul_f64 v[204:205], v[106:107], s[40:41]
	v_mul_f64 v[220:221], v[126:127], s[50:51]
	v_fma_f64 v[206:207], v[70:71], s[40:41], v[178:179]
	v_fma_f64 v[178:179], v[70:71], s[44:45], v[178:179]
	v_add_f64 v[190:191], v[6:7], v[190:191]
	v_add_f64 v[166:167], v[4:5], v[166:167]
	;; [unrolled: 1-line block ×4, first 2 shown]
	v_fma_f64 v[194:195], v[78:79], s[44:45], v[212:213]
	v_add_f64 v[182:183], v[6:7], v[182:183]
	v_fma_f64 v[196:197], v[88:89], s[10:11], v[196:197]
	v_mul_f64 v[222:223], v[104:105], s[54:55]
	v_mul_f64 v[224:225], v[132:133], s[6:7]
	v_add_f64 v[164:165], v[168:169], v[164:165]
	v_fma_f64 v[168:169], v[82:83], s[38:39], v[170:171]
	v_add_f64 v[160:161], v[6:7], v[160:161]
	v_add_f64 v[192:193], v[214:215], v[192:193]
	v_mul_f64 v[214:215], v[146:147], s[22:23]
	v_add_f64 v[176:177], v[198:199], v[176:177]
	v_add_f64 v[198:199], v[6:7], v[210:211]
	;; [unrolled: 1-line block ×4, first 2 shown]
	v_fma_f64 v[216:217], v[68:69], s[38:39], v[204:205]
	v_fma_f64 v[204:205], v[68:69], s[38:39], -v[204:205]
	v_add_f64 v[36:37], v[36:37], v[40:41]
	v_add_f64 v[172:173], v[178:179], v[172:173]
	v_fma_f64 v[178:179], v[74:75], s[24:25], v[218:219]
	v_add_f64 v[38:39], v[38:39], v[42:43]
	v_add_f64 v[184:185], v[4:5], v[184:185]
	v_fma_f64 v[208:209], v[72:73], s[8:9], -v[208:209]
	v_add_f64 v[162:163], v[194:195], v[180:181]
	v_mul_f64 v[180:181], v[108:109], s[36:37]
	v_add_f64 v[190:191], v[206:207], v[190:191]
	v_fma_f64 v[206:207], v[74:75], s[54:55], v[218:219]
	v_fma_f64 v[188:189], v[76:77], s[16:17], -v[188:189]
	v_mul_f64 v[218:219], v[140:141], s[4:5]
	v_add_f64 v[164:165], v[168:169], v[164:165]
	v_fma_f64 v[168:169], v[84:85], s[22:23], v[220:221]
	v_add_f64 v[186:187], v[4:5], v[186:187]
	v_fma_f64 v[194:195], v[80:81], s[20:21], v[214:215]
	;; [unrolled: 2-line block ×3, first 2 shown]
	v_mul_f64 v[212:213], v[110:111], s[42:43]
	v_add_f64 v[156:157], v[4:5], v[156:157]
	v_add_f64 v[42:43], v[216:217], v[200:201]
	v_fma_f64 v[200:201], v[72:73], s[26:27], v[222:223]
	v_mul_f64 v[216:217], v[134:135], s[16:17]
	v_add_f64 v[166:167], v[204:205], v[166:167]
	v_fma_f64 v[204:205], v[72:73], s[26:27], -v[222:223]
	v_mul_f64 v[222:223], v[118:119], s[38:39]
	v_add_f64 v[172:173], v[178:179], v[172:173]
	v_fma_f64 v[178:179], v[88:89], s[4:5], v[224:225]
	v_add_f64 v[32:33], v[32:33], v[36:37]
	v_fma_f64 v[40:41], v[70:71], s[56:57], v[180:181]
	v_fma_f64 v[180:181], v[70:71], s[34:35], v[180:181]
	v_add_f64 v[34:35], v[34:35], v[38:39]
	v_add_f64 v[192:193], v[208:209], v[192:193]
	v_mul_f64 v[208:209], v[152:153], s[6:7]
	v_add_f64 v[190:191], v[206:207], v[190:191]
	v_add_f64 v[164:165], v[168:169], v[164:165]
	v_mul_f64 v[168:169], v[106:107], s[34:35]
	v_add_f64 v[162:163], v[194:195], v[162:163]
	v_fma_f64 v[194:195], v[80:81], s[50:51], v[214:215]
	v_add_f64 v[176:177], v[196:197], v[176:177]
	v_fma_f64 v[196:197], v[76:77], s[6:7], v[212:213]
	v_mul_f64 v[214:215], v[146:147], s[30:31]
	v_fma_f64 v[206:207], v[88:89], s[42:43], v[224:225]
	v_fma_f64 v[224:225], v[92:93], s[6:7], v[218:219]
	v_add_f64 v[4:5], v[4:5], v[158:159]
	v_add_f64 v[42:43], v[200:201], v[42:43]
	;; [unrolled: 1-line block ×3, first 2 shown]
	v_fma_f64 v[204:205], v[76:77], s[6:7], -v[212:213]
	v_mul_f64 v[212:213], v[132:133], s[26:27]
	v_add_f64 v[38:39], v[178:179], v[172:173]
	v_fma_f64 v[172:173], v[78:79], s[48:49], v[216:217]
	v_fma_f64 v[178:179], v[74:75], s[44:45], v[222:223]
	v_add_f64 v[180:181], v[180:181], v[182:183]
	v_mul_f64 v[182:183], v[104:105], s[44:45]
	v_add_f64 v[28:29], v[28:29], v[32:33]
	v_add_f64 v[30:31], v[30:31], v[34:35]
	;; [unrolled: 1-line block ×3, first 2 shown]
	v_fma_f64 v[192:193], v[86:87], s[42:43], v[208:209]
	v_fma_f64 v[36:37], v[68:69], s[36:37], v[168:169]
	v_add_f64 v[40:41], v[40:41], v[202:203]
	v_fma_f64 v[202:203], v[74:75], s[40:41], v[222:223]
	v_mul_f64 v[200:201], v[102:103], s[10:11]
	v_add_f64 v[176:177], v[194:195], v[176:177]
	v_fma_f64 v[168:169], v[68:69], s[36:37], -v[168:169]
	v_add_f64 v[190:191], v[206:207], v[190:191]
	v_fma_f64 v[206:207], v[78:79], s[10:11], v[216:217]
	v_mul_f64 v[106:107], v[106:107], s[20:21]
	v_add_f64 v[42:43], v[196:197], v[42:43]
	v_mul_f64 v[196:197], v[126:127], s[28:29]
	v_add_f64 v[166:167], v[204:205], v[166:167]
	v_mul_f64 v[204:205], v[134:135], s[8:9]
	v_mul_f64 v[216:217], v[152:153], s[36:37]
	v_add_f64 v[38:39], v[172:173], v[38:39]
	v_mul_f64 v[172:173], v[110:111], s[54:55]
	v_add_f64 v[34:35], v[178:179], v[180:181]
	v_fma_f64 v[178:179], v[88:89], s[54:55], v[212:213]
	v_fma_f64 v[180:181], v[80:81], s[46:47], v[214:215]
	v_add_f64 v[24:25], v[24:25], v[28:29]
	v_mul_f64 v[28:29], v[108:109], s[8:9]
	v_add_f64 v[26:27], v[26:27], v[30:31]
	v_add_f64 v[32:33], v[36:37], v[184:185]
	v_fma_f64 v[36:37], v[72:73], s[38:39], v[182:183]
	v_add_f64 v[158:159], v[192:193], v[162:163]
	v_add_f64 v[162:163], v[224:225], v[164:165]
	v_mul_f64 v[164:165], v[68:69], s[8:9]
	v_fma_f64 v[194:195], v[82:83], s[16:17], v[200:201]
	v_fma_f64 v[200:201], v[82:83], s[16:17], -v[200:201]
	v_add_f64 v[168:169], v[168:169], v[186:187]
	v_fma_f64 v[182:183], v[72:73], s[38:39], -v[182:183]
	v_add_f64 v[190:191], v[206:207], v[190:191]
	v_fma_f64 v[206:207], v[80:81], s[28:29], v[214:215]
	v_mul_f64 v[104:105], v[104:105], s[34:35]
	v_fma_f64 v[208:209], v[86:87], s[4:5], v[208:209]
	v_fma_f64 v[184:185], v[84:85], s[30:31], v[196:197]
	;; [unrolled: 1-line block ×3, first 2 shown]
	v_mul_f64 v[110:111], v[110:111], s[40:41]
	v_add_f64 v[40:41], v[202:203], v[40:41]
	v_add_f64 v[34:35], v[178:179], v[34:35]
	v_add_f64 v[38:39], v[180:181], v[38:39]
	v_mul_f64 v[180:181], v[118:119], s[36:37]
	v_mul_f64 v[118:119], v[118:119], s[16:17]
	v_add_f64 v[20:21], v[20:21], v[24:25]
	v_add_f64 v[24:25], v[98:99], v[28:29]
	;; [unrolled: 1-line block ×3, first 2 shown]
	v_fma_f64 v[32:33], v[76:77], s[26:27], v[172:173]
	v_fma_f64 v[36:37], v[78:79], s[52:53], v[204:205]
	v_add_f64 v[22:23], v[22:23], v[26:27]
	v_mul_f64 v[26:27], v[72:73], s[16:17]
	v_add_f64 v[166:167], v[200:201], v[166:167]
	v_mul_f64 v[200:201], v[108:109], s[22:23]
	v_add_f64 v[168:169], v[182:183], v[168:169]
	v_fma_f64 v[182:183], v[68:69], s[22:23], -v[106:107]
	v_fma_f64 v[68:69], v[68:69], s[22:23], v[106:107]
	v_add_f64 v[42:43], v[194:195], v[42:43]
	v_add_f64 v[190:191], v[206:207], v[190:191]
	v_mul_f64 v[106:107], v[132:133], s[38:39]
	v_fma_f64 v[202:203], v[88:89], s[24:25], v[212:213]
	v_add_f64 v[108:109], v[208:209], v[176:177]
	v_fma_f64 v[172:173], v[76:77], s[26:27], -v[172:173]
	v_mul_f64 v[98:99], v[82:83], s[26:27]
	v_fma_f64 v[170:171], v[82:83], s[38:39], -v[170:171]
	v_fma_f64 v[194:195], v[84:85], s[30:31], -v[196:197]
	v_add_f64 v[118:119], v[120:121], v[118:119]
	v_mul_f64 v[120:121], v[146:147], s[36:37]
	v_add_f64 v[6:7], v[24:25], v[6:7]
	v_mul_f64 v[24:25], v[150:151], s[34:35]
	v_add_f64 v[28:29], v[32:33], v[30:31]
	v_add_f64 v[32:33], v[36:37], v[34:35]
	v_mul_f64 v[34:35], v[132:133], s[22:23]
	v_add_f64 v[36:37], v[164:165], -v[174:175]
	v_mul_f64 v[164:165], v[134:135], s[26:27]
	v_fma_f64 v[174:175], v[74:75], s[34:35], v[180:181]
	v_fma_f64 v[74:75], v[74:75], s[56:57], v[180:181]
	v_mul_f64 v[180:181], v[92:93], s[30:31]
	v_fma_f64 v[178:179], v[70:71], s[20:21], v[200:201]
	v_fma_f64 v[70:71], v[70:71], s[50:51], v[200:201]
	v_mul_f64 v[30:31], v[76:77], s[22:23]
	v_add_f64 v[156:157], v[182:183], v[156:157]
	v_add_f64 v[26:27], v[26:27], -v[100:101]
	v_add_f64 v[68:69], v[68:69], v[210:211]
	v_add_f64 v[42:43], v[184:185], v[42:43]
	;; [unrolled: 1-line block ×3, first 2 shown]
	v_fma_f64 v[184:185], v[88:89], s[44:45], v[106:107]
	v_fma_f64 v[88:89], v[88:89], s[40:41], v[106:107]
	v_mul_f64 v[134:135], v[134:135], s[30:31]
	v_add_f64 v[120:121], v[136:137], v[120:121]
	v_add_f64 v[6:7], v[118:119], v[6:7]
	v_fma_f64 v[118:119], v[96:97], s[36:37], v[24:25]
	v_fma_f64 v[186:187], v[96:97], s[36:37], -v[24:25]
	v_add_f64 v[168:169], v[172:173], v[168:169]
	v_add_f64 v[34:35], v[124:125], v[34:35]
	;; [unrolled: 1-line block ×4, first 2 shown]
	v_fma_f64 v[124:125], v[76:77], s[38:39], -v[110:111]
	v_fma_f64 v[76:77], v[76:77], s[38:39], v[110:111]
	v_mul_f64 v[172:173], v[84:85], s[36:37]
	v_add_f64 v[160:161], v[178:179], v[160:161]
	v_fma_f64 v[178:179], v[72:73], s[36:37], -v[104:105]
	v_add_f64 v[70:71], v[70:71], v[198:199]
	v_fma_f64 v[72:73], v[72:73], s[36:37], v[104:105]
	v_add_f64 v[24:25], v[30:31], -v[116:117]
	v_add_f64 v[98:99], v[98:99], -v[122:123]
	v_add_f64 v[40:41], v[202:203], v[40:41]
	v_fma_f64 v[196:197], v[78:79], s[18:19], v[204:205]
	v_add_f64 v[18:19], v[18:19], v[22:23]
	v_add_f64 v[16:17], v[16:17], v[20:21]
	v_mul_f64 v[36:37], v[152:153], s[30:31]
	v_mul_f64 v[104:105], v[140:141], s[56:57]
	v_add_f64 v[170:171], v[170:171], v[188:189]
	v_fma_f64 v[188:189], v[84:85], s[22:23], -v[220:221]
	v_mul_f64 v[182:183], v[96:97], s[38:39]
	v_mul_f64 v[106:107], v[154:155], s[38:39]
	v_add_f64 v[6:7], v[34:35], v[6:7]
	v_add_f64 v[4:5], v[26:27], v[4:5]
	v_mul_f64 v[26:27], v[102:103], s[52:53]
	v_mul_f64 v[102:103], v[102:103], s[46:47]
	;; [unrolled: 1-line block ×4, first 2 shown]
	v_add_f64 v[160:161], v[174:175], v[160:161]
	v_add_f64 v[156:157], v[178:179], v[156:157]
	;; [unrolled: 1-line block ×4, first 2 shown]
	v_mul_f64 v[74:75], v[146:147], s[6:7]
	v_mul_f64 v[146:147], v[146:147], s[26:27]
	;; [unrolled: 1-line block ×3, first 2 shown]
	v_add_f64 v[40:41], v[196:197], v[40:41]
	v_add_f64 v[14:15], v[14:15], v[18:19]
	;; [unrolled: 1-line block ×5, first 2 shown]
	v_mul_f64 v[100:101], v[154:155], s[8:9]
	v_mul_f64 v[174:175], v[150:151], s[52:53]
	v_fma_f64 v[110:111], v[92:93], s[36:37], v[104:105]
	v_fma_f64 v[104:105], v[92:93], s[36:37], -v[104:105]
	v_add_f64 v[6:7], v[128:129], v[6:7]
	v_add_f64 v[4:5], v[24:25], v[4:5]
	v_fma_f64 v[122:123], v[82:83], s[8:9], -v[26:27]
	v_fma_f64 v[24:25], v[82:83], s[30:31], -v[102:103]
	v_fma_f64 v[26:27], v[82:83], s[8:9], v[26:27]
	v_fma_f64 v[82:83], v[82:83], s[30:31], v[102:103]
	v_add_f64 v[88:89], v[88:89], v[160:161]
	v_add_f64 v[124:125], v[124:125], v[156:157]
	v_fma_f64 v[156:157], v[78:79], s[46:47], v[134:135]
	v_mul_f64 v[160:161], v[126:127], s[4:5]
	v_mul_f64 v[126:127], v[126:127], s[54:55]
	v_fma_f64 v[78:79], v[78:79], s[28:29], v[134:135]
	v_add_f64 v[70:71], v[184:185], v[70:71]
	v_add_f64 v[68:69], v[76:77], v[68:69]
	v_add_f64 v[128:129], v[172:173], -v[130:131]
	v_mul_f64 v[184:185], v[140:141], s[20:21]
	v_mul_f64 v[140:141], v[140:141], s[48:49]
	v_fma_f64 v[134:135], v[80:81], s[42:43], v[74:75]
	v_fma_f64 v[74:75], v[80:81], s[4:5], v[74:75]
	v_mul_f64 v[102:103], v[150:151], s[28:29]
	v_add_f64 v[170:171], v[188:189], v[170:171]
	v_fma_f64 v[188:189], v[92:93], s[6:7], -v[218:219]
	v_add_f64 v[6:7], v[120:121], v[6:7]
	v_add_f64 v[120:121], v[180:181], -v[142:143]
	buffer_load_dword v180, off, s[60:63], 0 offset:8 ; 4-byte Folded Reload
	v_add_f64 v[4:5], v[98:99], v[4:5]
	v_add_f64 v[22:23], v[122:123], v[168:169]
	;; [unrolled: 1-line block ×3, first 2 shown]
	v_mul_f64 v[98:99], v[154:155], s[6:7]
	v_add_f64 v[20:21], v[24:25], v[124:125]
	v_add_f64 v[88:89], v[156:157], v[88:89]
	v_fma_f64 v[156:157], v[80:81], s[54:55], v[146:147]
	v_fma_f64 v[136:137], v[84:85], s[26:27], -v[126:127]
	v_fma_f64 v[76:77], v[84:85], s[6:7], -v[160:161]
	v_fma_f64 v[24:25], v[84:85], s[6:7], v[160:161]
	v_fma_f64 v[80:81], v[80:81], s[24:25], v[146:147]
	v_add_f64 v[70:71], v[78:79], v[70:71]
	v_fma_f64 v[84:85], v[84:85], s[26:27], v[126:127]
	v_add_f64 v[68:69], v[82:83], v[68:69]
	v_fma_f64 v[82:83], v[86:87], s[48:49], v[152:153]
	v_mul_f64 v[78:79], v[150:151], s[42:43]
	v_fma_f64 v[122:123], v[92:93], s[16:17], -v[140:141]
	v_fma_f64 v[28:29], v[86:87], s[20:21], v[34:35]
	v_add_f64 v[32:33], v[74:75], v[32:33]
	v_fma_f64 v[74:75], v[92:93], s[22:23], -v[184:185]
	v_mul_f64 v[132:133], v[154:155], s[36:37]
	v_fma_f64 v[116:117], v[86:87], s[34:35], v[216:217]
	v_add_f64 v[4:5], v[128:129], v[4:5]
	v_add_f64 v[10:11], v[10:11], v[14:15]
	;; [unrolled: 1-line block ×4, first 2 shown]
	v_add_f64 v[36:37], v[182:183], -v[138:139]
	v_fma_f64 v[30:31], v[90:91], s[18:19], v[100:101]
	v_add_f64 v[88:89], v[156:157], v[88:89]
	v_add_f64 v[16:17], v[136:137], v[20:21]
	;; [unrolled: 1-line block ×3, first 2 shown]
	v_fma_f64 v[20:21], v[86:87], s[50:51], v[34:35]
	v_add_f64 v[22:23], v[134:135], v[40:41]
	v_fma_f64 v[34:35], v[92:93], s[22:23], v[184:185]
	v_add_f64 v[24:25], v[24:25], v[26:27]
	;; [unrolled: 2-line block ×4, first 2 shown]
	v_add_f64 v[86:87], v[144:145], v[106:107]
	v_fma_f64 v[80:81], v[90:91], s[42:43], v[98:99]
	v_fma_f64 v[84:85], v[96:97], s[6:7], -v[78:79]
	v_fma_f64 v[26:27], v[90:91], s[28:29], v[164:165]
	v_add_f64 v[28:29], v[28:29], v[32:33]
	v_fma_f64 v[32:33], v[96:97], s[30:31], -v[102:103]
	v_fma_f64 v[100:101], v[90:91], s[52:53], v[100:101]
	v_fma_f64 v[72:73], v[96:97], s[8:9], -v[174:175]
	v_add_f64 v[104:105], v[104:105], v[166:167]
	v_add_f64 v[170:171], v[188:189], v[170:171]
	v_fma_f64 v[178:179], v[90:91], s[56:57], v[132:133]
	v_add_f64 v[82:83], v[82:83], v[88:89]
	v_add_f64 v[88:89], v[120:121], v[4:5]
	;; [unrolled: 1-line block ×4, first 2 shown]
	v_fma_f64 v[132:133], v[90:91], s[34:35], v[132:133]
	v_add_f64 v[38:39], v[116:117], v[38:39]
	v_fma_f64 v[106:107], v[96:97], s[8:9], v[174:175]
	v_add_f64 v[42:43], v[110:111], v[42:43]
	;; [unrolled: 2-line block ×6, first 2 shown]
	v_add_f64 v[24:25], v[2:3], v[10:11]
	v_add_f64 v[22:23], v[0:1], v[14:15]
	v_add_f64 v[20:21], v[86:87], v[6:7]
	v_add_f64 v[12:13], v[26:27], v[28:29]
	v_add_f64 v[8:9], v[100:101], v[176:177]
	v_add_f64 v[6:7], v[72:73], v[104:105]
	v_add_f64 v[16:17], v[80:81], v[82:83]
	v_add_f64 v[18:19], v[36:37], v[88:89]
	v_add_f64 v[14:15], v[84:85], v[92:93]
	v_add_f64 v[10:11], v[32:33], v[74:75]
	v_add_f64 v[4:5], v[132:133], v[108:109]
	v_add_f64 v[2:3], v[186:187], v[170:171]
	v_add_f64 v[28:29], v[178:179], v[158:159]
	v_add_f64 v[26:27], v[118:119], v[162:163]
	v_mov_b32_e32 v1, 4
	v_add_f64 v[32:33], v[30:31], v[38:39]
	v_add_f64 v[30:31], v[106:107], v[42:43]
	;; [unrolled: 1-line block ×6, first 2 shown]
	s_waitcnt vmcnt(0)
	v_mul_lo_u16 v0, v180, 17
	v_lshlrev_b32_sdwa v0, v1, v0 dst_sel:DWORD dst_unused:UNUSED_PAD src0_sel:DWORD src1_sel:WORD_0
	ds_write_b128 v0, v[22:25]
	ds_write_b128 v0, v[18:21] offset:16
	ds_write_b128 v0, v[14:17] offset:32
	;; [unrolled: 1-line block ×16, first 2 shown]
.LBB0_7:
	s_or_b32 exec_lo, exec_lo, s33
	v_add_nc_u16 v15, v180, 0x66
	v_and_b32_e32 v0, 0xff, v180
	v_add_co_u32 v12, null, 0xcc, v180
	v_add_co_u32 v9, null, 0x132, v180
	v_and_b32_e32 v16, 0xff, v15
	v_mul_lo_u16 v30, 0xf1, v0
	v_mov_b32_e32 v23, 0xf0f1
	s_load_dwordx4 s[4:7], s[0:1], 0x0
	s_waitcnt lgkmcnt(0)
	s_waitcnt_vscnt null, 0x0
	v_mul_lo_u16 v17, 0xf1, v16
	v_lshrrev_b16 v18, 12, v30
	v_mul_u32_u24_sdwa v13, v12, v23 dst_sel:DWORD dst_unused:UNUSED_PAD src0_sel:WORD_0 src1_sel:DWORD
	v_mul_u32_u24_sdwa v14, v9, v23 dst_sel:DWORD dst_unused:UNUSED_PAD src0_sel:WORD_0 src1_sel:DWORD
	s_barrier
	v_lshrrev_b16 v2, 12, v17
	v_mul_lo_u16 v0, v18, 17
	buffer_gl0_inv
	v_lshrrev_b32_e32 v4, 20, v13
	v_mov_b32_e32 v11, 4
	v_mul_lo_u16 v1, v2, 17
	v_sub_nc_u16 v0, v180, v0
	v_add_co_u32 v7, null, 0x198, v180
	v_mul_lo_u16 v8, v4, 17
	v_sub_nc_u16 v6, v15, v1
	v_and_b32_e32 v1, 0xff, v0
	v_add_co_u32 v3, null, 0x264, v180
	v_sub_nc_u16 v19, v12, v8
	v_and_b32_e32 v0, 0xff, v6
	v_lshlrev_b32_e32 v20, 4, v1
	v_add_nc_u16 v6, v180, 0x1fe
	v_add_co_u32 v5, null, 0x2ca, v180
	v_lshlrev_b32_e32 v21, 4, v0
	v_lshlrev_b32_sdwa v25, v11, v19 dst_sel:DWORD dst_unused:UNUSED_PAD src0_sel:DWORD src1_sel:WORD_0
	v_mul_u32_u24_sdwa v10, v7, v23 dst_sel:DWORD dst_unused:UNUSED_PAD src0_sel:WORD_0 src1_sel:DWORD
	s_clause 0x1
	global_load_dwordx4 v[157:160], v20, s[2:3]
	global_load_dwordx4 v[153:156], v21, s[2:3]
	v_lshrrev_b32_e32 v20, 20, v14
	global_load_dwordx4 v[185:188], v25, s[2:3]
	v_mul_u32_u24_sdwa v8, v6, v23 dst_sel:DWORD dst_unused:UNUSED_PAD src0_sel:WORD_0 src1_sel:DWORD
	v_mul_u32_u24_sdwa v31, v3, v23 dst_sel:DWORD dst_unused:UNUSED_PAD src0_sel:WORD_0 src1_sel:DWORD
	v_lshrrev_b32_e32 v21, 20, v10
	v_mul_lo_u16 v26, v20, 17
	v_mul_u32_u24_sdwa v32, v5, v23 dst_sel:DWORD dst_unused:UNUSED_PAD src0_sel:WORD_0 src1_sel:DWORD
	v_lshrrev_b32_e32 v22, 20, v8
	v_lshrrev_b32_e32 v23, 20, v31
	v_mul_lo_u16 v28, v21, 17
	v_sub_nc_u16 v27, v9, v26
	v_lshrrev_b32_e32 v24, 20, v32
	v_mul_lo_u16 v29, v22, 17
	v_mul_lo_u16 v26, v23, 17
	v_sub_nc_u16 v28, v7, v28
	v_lshlrev_b32_sdwa v34, v11, v27 dst_sel:DWORD dst_unused:UNUSED_PAD src0_sel:DWORD src1_sel:WORD_0
	v_mul_lo_u16 v33, v24, 17
	v_sub_nc_u16 v29, v6, v29
	v_lshlrev_b32_sdwa v92, v11, v180 dst_sel:DWORD dst_unused:UNUSED_PAD src0_sel:DWORD src1_sel:WORD_0
	v_lshlrev_b32_sdwa v35, v11, v28 dst_sel:DWORD dst_unused:UNUSED_PAD src0_sel:DWORD src1_sel:WORD_0
	global_load_dwordx4 v[181:184], v34, s[2:3]
	v_sub_nc_u16 v25, v3, v26
	v_sub_nc_u16 v26, v5, v33
	v_lshlrev_b32_sdwa v33, v11, v29 dst_sel:DWORD dst_unused:UNUSED_PAD src0_sel:DWORD src1_sel:WORD_0
	global_load_dwordx4 v[173:176], v35, s[2:3]
	v_lshrrev_b16 v91, 13, v30
	v_lshlrev_b32_sdwa v34, v11, v25 dst_sel:DWORD dst_unused:UNUSED_PAD src0_sel:DWORD src1_sel:WORD_0
	v_lshlrev_b32_sdwa v35, v11, v26 dst_sel:DWORD dst_unused:UNUSED_PAD src0_sel:DWORD src1_sel:WORD_0
	s_clause 0x2
	global_load_dwordx4 v[169:172], v33, s[2:3]
	global_load_dwordx4 v[165:168], v34, s[2:3]
	;; [unrolled: 1-line block ×3, first 2 shown]
	ds_read_b128 v[33:36], v92
	ds_read_b128 v[37:40], v92 offset:1632
	ds_read_b128 v[41:44], v92 offset:13056
	;; [unrolled: 1-line block ×15, first 2 shown]
	v_lshrrev_b32_e32 v93, 21, v13
	v_lshrrev_b32_e32 v95, 21, v14
	;; [unrolled: 1-line block ×3, first 2 shown]
	v_mul_lo_u16 v18, v18, 34
	v_mul_lo_u16 v30, v91, 34
	v_lshrrev_b16 v138, 13, v17
	v_mul_lo_u16 v17, v93, 34
	v_mul_lo_u16 v31, v95, 34
	v_and_b32_e32 v141, 0xfe, v18
	v_sub_nc_u16 v143, v180, v30
	v_lshrrev_b32_e32 v134, 21, v10
	v_sub_nc_u16 v145, v12, v17
	v_sub_nc_u16 v146, v9, v31
	v_lshrrev_b32_e32 v135, 21, v8
	v_lshrrev_b32_e32 v137, 21, v32
	v_mov_b32_e32 v89, 34
	v_mul_lo_u16 v32, v134, 34
	v_mul_lo_u16 v139, v136, 34
	;; [unrolled: 1-line block ×4, first 2 shown]
	v_mul_u32_u24_sdwa v142, v2, v89 dst_sel:DWORD dst_unused:UNUSED_PAD src0_sel:WORD_0 src1_sel:DWORD
	v_sub_nc_u16 v147, v7, v32
	v_sub_nc_u16 v139, v3, v139
	;; [unrolled: 1-line block ×4, first 2 shown]
	v_mad_u16 v149, v4, 34, v19
	v_mad_u16 v151, v21, 34, v28
	;; [unrolled: 1-line block ×4, first 2 shown]
	v_mul_lo_u16 v144, v138, 34
	v_mad_u16 v93, 0x44, v93, v145
	v_mad_u16 v95, 0x44, v95, v146
	v_cmp_gt_u16_e64 s0, 34, v180
	s_waitcnt vmcnt(7) lgkmcnt(13)
	v_mul_f64 v[30:31], v[43:44], v[159:160]
	s_waitcnt vmcnt(6) lgkmcnt(12)
	v_mul_f64 v[104:105], v[47:48], v[155:156]
	v_mul_f64 v[89:90], v[41:42], v[159:160]
	s_waitcnt vmcnt(5) lgkmcnt(9)
	v_mul_f64 v[17:18], v[59:60], v[187:188]
	v_mul_f64 v[106:107], v[45:46], v[155:156]
	;; [unrolled: 1-line block ×3, first 2 shown]
	s_waitcnt vmcnt(4) lgkmcnt(8)
	v_mul_f64 v[110:111], v[63:64], v[183:184]
	v_mul_f64 v[116:117], v[61:62], v[183:184]
	v_fma_f64 v[4:5], v[41:42], v[157:158], -v[30:31]
	v_fma_f64 v[2:3], v[57:58], v[185:186], -v[17:18]
	buffer_store_dword v157, off, s[60:63], 0 offset:44 ; 4-byte Folded Spill
	buffer_store_dword v158, off, s[60:63], 0 offset:48 ; 4-byte Folded Spill
	;; [unrolled: 1-line block ×4, first 2 shown]
	v_fma_f64 v[21:22], v[45:46], v[153:154], -v[104:105]
	buffer_store_dword v153, off, s[60:63], 0 offset:28 ; 4-byte Folded Spill
	buffer_store_dword v154, off, s[60:63], 0 offset:32 ; 4-byte Folded Spill
	;; [unrolled: 1-line block ×8, first 2 shown]
	s_waitcnt vmcnt(3) lgkmcnt(5)
	v_mul_f64 v[118:119], v[75:76], v[175:176]
	s_waitcnt vmcnt(2) lgkmcnt(4)
	v_mul_f64 v[122:123], v[79:80], v[171:172]
	;; [unrolled: 2-line block ×4, first 2 shown]
	v_mul_f64 v[120:121], v[73:74], v[175:176]
	v_mul_f64 v[124:125], v[77:78], v[171:172]
	;; [unrolled: 1-line block ×4, first 2 shown]
	v_and_b32_e32 v104, 0xff, v143
	v_fma_f64 v[31:32], v[61:62], v[181:182], -v[110:111]
	buffer_store_dword v181, off, s[60:63], 0 offset:124 ; 4-byte Folded Spill
	buffer_store_dword v182, off, s[60:63], 0 offset:128 ; 4-byte Folded Spill
	;; [unrolled: 1-line block ×4, first 2 shown]
	v_add_f64 v[17:18], v[33:34], -v[4:5]
	v_lshlrev_b32_e32 v5, 4, v104
	v_add_f64 v[21:22], v[37:38], -v[21:22]
	v_fma_f64 v[33:34], v[33:34], 2.0, -v[17:18]
	v_fma_f64 v[37:38], v[37:38], 2.0, -v[21:22]
	v_fma_f64 v[19:20], v[43:44], v[157:158], v[89:90]
	v_fma_f64 v[43:44], v[73:74], v[173:174], -v[118:119]
	v_fma_f64 v[27:28], v[47:48], v[153:154], v[106:107]
	v_fma_f64 v[29:30], v[59:60], v[185:186], v[108:109]
	buffer_store_dword v173, off, s[60:63], 0 offset:108 ; 4-byte Folded Spill
	buffer_store_dword v174, off, s[60:63], 0 offset:112 ; 4-byte Folded Spill
	;; [unrolled: 1-line block ×4, first 2 shown]
	v_fma_f64 v[47:48], v[77:78], v[169:170], -v[122:123]
	buffer_store_dword v169, off, s[60:63], 0 offset:92 ; 4-byte Folded Spill
	buffer_store_dword v170, off, s[60:63], 0 offset:96 ; 4-byte Folded Spill
	;; [unrolled: 1-line block ×4, first 2 shown]
	v_fma_f64 v[59:60], v[96:97], v[165:166], -v[126:127]
	buffer_store_dword v165, off, s[60:63], 0 offset:76 ; 4-byte Folded Spill
	buffer_store_dword v166, off, s[60:63], 0 offset:80 ; 4-byte Folded Spill
	;; [unrolled: 1-line block ×4, first 2 shown]
	v_mad_u16 v77, v24, 34, v26
	v_add_lshl_u32 v97, v141, v1, 4
	v_add_f64 v[1:2], v[49:50], -v[2:3]
	v_lshlrev_b32_sdwa v96, v11, v149 dst_sel:DWORD dst_unused:UNUSED_PAD src0_sel:DWORD src1_sel:WORD_0
	v_lshlrev_b32_sdwa v90, v11, v150 dst_sel:DWORD dst_unused:UNUSED_PAD src0_sel:DWORD src1_sel:WORD_0
	;; [unrolled: 1-line block ×5, first 2 shown]
	v_fma_f64 v[41:42], v[63:64], v[181:182], v[116:117]
	v_fma_f64 v[63:64], v[100:101], v[161:162], -v[130:131]
	buffer_store_dword v161, off, s[60:63], 0 offset:60 ; 4-byte Folded Spill
	buffer_store_dword v162, off, s[60:63], 0 offset:64 ; 4-byte Folded Spill
	buffer_store_dword v163, off, s[60:63], 0 offset:68 ; 4-byte Folded Spill
	buffer_store_dword v164, off, s[60:63], 0 offset:72 ; 4-byte Folded Spill
	v_add_f64 v[19:20], v[35:36], -v[19:20]
	s_waitcnt_vscnt null, 0x0
	s_barrier
	v_add_f64 v[3:4], v[51:52], -v[29:30]
	v_add_f64 v[29:30], v[65:66], -v[43:44]
	buffer_gl0_inv
	buffer_store_dword v97, off, s[60:63], 0 offset:436 ; 4-byte Folded Spill
	v_fma_f64 v[49:50], v[49:50], 2.0, -v[1:2]
	v_fma_f64 v[35:36], v[35:36], 2.0, -v[19:20]
	ds_write_b128 v97, v[17:20] offset:272
	v_fma_f64 v[51:52], v[51:52], 2.0, -v[3:4]
	v_fma_f64 v[45:46], v[75:76], v[173:174], v[120:121]
	v_mad_u16 v75, v23, 34, v25
	v_fma_f64 v[57:58], v[79:80], v[169:170], v[124:125]
	v_add_f64 v[23:24], v[39:40], -v[27:28]
	v_fma_f64 v[61:62], v[98:99], v[165:166], v[128:129]
	v_add_f64 v[25:26], v[53:54], -v[31:32]
	v_add_f64 v[27:28], v[55:56], -v[41:42]
	;; [unrolled: 1-line block ×3, first 2 shown]
	v_sub_nc_u16 v76, v15, v144
	v_lshlrev_b32_sdwa v79, v11, v75 dst_sel:DWORD dst_unused:UNUSED_PAD src0_sel:DWORD src1_sel:WORD_0
	v_lshlrev_b32_sdwa v80, v11, v152 dst_sel:DWORD dst_unused:UNUSED_PAD src0_sel:DWORD src1_sel:WORD_0
	v_and_b32_e32 v105, 0xff, v76
	v_fma_f64 v[73:74], v[102:103], v[161:162], v[132:133]
	v_add_f64 v[31:32], v[67:68], -v[45:46]
	v_add_f64 v[45:46], v[81:82], -v[59:60]
	;; [unrolled: 1-line block ×5, first 2 shown]
	v_fma_f64 v[39:40], v[39:40], 2.0, -v[23:24]
	v_fma_f64 v[53:54], v[53:54], 2.0, -v[25:26]
	;; [unrolled: 1-line block ×5, first 2 shown]
	v_add_f64 v[59:60], v[87:88], -v[73:74]
	v_fma_f64 v[63:64], v[67:68], 2.0, -v[31:32]
	v_fma_f64 v[69:70], v[81:82], 2.0, -v[45:46]
	;; [unrolled: 1-line block ×5, first 2 shown]
	v_add_lshl_u32 v81, v142, v0, 4
	ds_write_b128 v97, v[33:36]
	ds_write_b128 v81, v[21:24] offset:272
	buffer_store_dword v81, off, s[60:63], 0 offset:456 ; 4-byte Folded Spill
	ds_write_b128 v81, v[37:40]
	ds_write_b128 v96, v[49:52]
	buffer_store_dword v96, off, s[60:63], 0 offset:432 ; 4-byte Folded Spill
	ds_write_b128 v96, v[1:4] offset:272
	ds_write_b128 v90, v[53:56]
	buffer_store_dword v90, off, s[60:63], 0 offset:412 ; 4-byte Folded Spill
	ds_write_b128 v90, v[25:28] offset:272
	ds_write_b128 v89, v[61:64]
	v_fma_f64 v[75:76], v[87:88], 2.0, -v[59:60]
	buffer_store_dword v89, off, s[60:63], 0 offset:408 ; 4-byte Folded Spill
	ds_write_b128 v89, v[29:32] offset:272
	ds_write_b128 v80, v[65:68]
	buffer_store_dword v80, off, s[60:63], 0 offset:404 ; 4-byte Folded Spill
	ds_write_b128 v80, v[41:44] offset:272
	ds_write_b128 v79, v[69:72]
	buffer_store_dword v79, off, s[60:63], 0 offset:396 ; 4-byte Folded Spill
	v_lshlrev_b32_e32 v0, 4, v105
	v_lshlrev_b32_sdwa v1, v11, v146 dst_sel:DWORD dst_unused:UNUSED_PAD src0_sel:DWORD src1_sel:WORD_0
	v_lshlrev_b32_sdwa v2, v11, v148 dst_sel:DWORD dst_unused:UNUSED_PAD src0_sel:DWORD src1_sel:WORD_0
	v_mul_lo_u16 v4, 0x44, v91
	v_mov_b32_e32 v63, 0x44
	ds_write_b128 v79, v[45:48] offset:272
	ds_write_b128 v77, v[73:76]
	buffer_store_dword v77, off, s[60:63], 0 offset:400 ; 4-byte Folded Spill
	ds_write_b128 v77, v[57:60] offset:272
	s_waitcnt lgkmcnt(0)
	s_waitcnt_vscnt null, 0x0
	s_barrier
	buffer_gl0_inv
	s_clause 0x2
	global_load_dwordx4 v[153:156], v5, s[2:3] offset:272
	global_load_dwordx4 v[149:152], v0, s[2:3] offset:272
	global_load_dwordx4 v[124:127], v1, s[2:3] offset:272
	v_lshlrev_b32_sdwa v0, v11, v147 dst_sel:DWORD dst_unused:UNUSED_PAD src0_sel:DWORD src1_sel:WORD_0
	v_lshlrev_b32_sdwa v1, v11, v139 dst_sel:DWORD dst_unused:UNUSED_PAD src0_sel:DWORD src1_sel:WORD_0
	global_load_dwordx4 v[120:123], v78, s[2:3] offset:272
	v_and_b32_e32 v106, 0xfc, v4
	v_mul_u32_u24_sdwa v63, v138, v63 dst_sel:DWORD dst_unused:UNUSED_PAD src0_sel:WORD_0 src1_sel:DWORD
	global_load_dwordx4 v[128:131], v0, s[2:3] offset:272
	v_lshlrev_b32_sdwa v0, v11, v140 dst_sel:DWORD dst_unused:UNUSED_PAD src0_sel:DWORD src1_sel:WORD_0
	s_clause 0x2
	global_load_dwordx4 v[141:144], v2, s[2:3] offset:272
	global_load_dwordx4 v[116:119], v1, s[2:3] offset:272
	;; [unrolled: 1-line block ×3, first 2 shown]
	ds_read_b128 v[0:3], v92 offset:13056
	ds_read_b128 v[17:20], v92 offset:14688
	;; [unrolled: 1-line block ×8, first 2 shown]
	ds_read_b128 v[45:48], v92
	ds_read_b128 v[64:67], v92 offset:1632
	ds_read_b128 v[68:71], v92 offset:3264
	;; [unrolled: 1-line block ×5, first 2 shown]
	s_waitcnt vmcnt(7) lgkmcnt(13)
	v_mul_f64 v[4:5], v[2:3], v[155:156]
	v_mul_f64 v[49:50], v[0:1], v[155:156]
	s_waitcnt vmcnt(6) lgkmcnt(12)
	v_mul_f64 v[51:52], v[19:20], v[151:152]
	s_waitcnt vmcnt(5) lgkmcnt(10)
	v_mul_f64 v[59:60], v[27:28], v[126:127]
	v_mul_f64 v[53:54], v[17:18], v[151:152]
	s_waitcnt vmcnt(4)
	v_mul_f64 v[55:56], v[23:24], v[122:123]
	v_mul_f64 v[57:58], v[21:22], v[122:123]
	;; [unrolled: 1-line block ×3, first 2 shown]
	s_waitcnt vmcnt(3) lgkmcnt(9)
	v_mul_f64 v[84:85], v[31:32], v[130:131]
	v_mul_f64 v[86:87], v[29:30], v[130:131]
	s_waitcnt vmcnt(2) lgkmcnt(8)
	v_mul_f64 v[88:89], v[35:36], v[143:144]
	s_waitcnt vmcnt(1) lgkmcnt(7)
	;; [unrolled: 2-line block ×3, first 2 shown]
	v_mul_f64 v[100:101], v[43:44], v[109:110]
	v_mul_f64 v[90:91], v[33:34], v[143:144]
	;; [unrolled: 1-line block ×4, first 2 shown]
	v_fma_f64 v[4:5], v[0:1], v[153:154], -v[4:5]
	buffer_store_dword v153, off, s[60:63], 0 offset:268 ; 4-byte Folded Spill
	buffer_store_dword v154, off, s[60:63], 0 offset:272 ; 4-byte Folded Spill
	;; [unrolled: 1-line block ×4, first 2 shown]
	v_fma_f64 v[51:52], v[17:18], v[149:150], -v[51:52]
	buffer_store_dword v149, off, s[60:63], 0 offset:252 ; 4-byte Folded Spill
	buffer_store_dword v150, off, s[60:63], 0 offset:256 ; 4-byte Folded Spill
	;; [unrolled: 1-line block ×4, first 2 shown]
	v_fma_f64 v[59:60], v[25:26], v[124:125], -v[59:60]
	v_fma_f64 v[55:56], v[21:22], v[120:121], -v[55:56]
	buffer_store_dword v120, off, s[60:63], 0 offset:188 ; 4-byte Folded Spill
	buffer_store_dword v121, off, s[60:63], 0 offset:192 ; 4-byte Folded Spill
	;; [unrolled: 1-line block ×8, first 2 shown]
	v_fma_f64 v[84:85], v[29:30], v[128:129], -v[84:85]
	buffer_store_dword v128, off, s[60:63], 0 offset:220 ; 4-byte Folded Spill
	buffer_store_dword v129, off, s[60:63], 0 offset:224 ; 4-byte Folded Spill
	buffer_store_dword v130, off, s[60:63], 0 offset:228 ; 4-byte Folded Spill
	buffer_store_dword v131, off, s[60:63], 0 offset:232 ; 4-byte Folded Spill
	v_fma_f64 v[88:89], v[33:34], v[141:142], -v[88:89]
	buffer_store_dword v141, off, s[60:63], 0 offset:236 ; 4-byte Folded Spill
	buffer_store_dword v142, off, s[60:63], 0 offset:240 ; 4-byte Folded Spill
	buffer_store_dword v143, off, s[60:63], 0 offset:244 ; 4-byte Folded Spill
	buffer_store_dword v144, off, s[60:63], 0 offset:248 ; 4-byte Folded Spill
	v_fma_f64 v[96:97], v[37:38], v[116:117], -v[96:97]
	buffer_store_dword v116, off, s[60:63], 0 offset:172 ; 4-byte Folded Spill
	buffer_store_dword v117, off, s[60:63], 0 offset:176 ; 4-byte Folded Spill
	buffer_store_dword v118, off, s[60:63], 0 offset:180 ; 4-byte Folded Spill
	buffer_store_dword v119, off, s[60:63], 0 offset:184 ; 4-byte Folded Spill
	v_fma_f64 v[100:101], v[41:42], v[107:108], -v[100:101]
	s_waitcnt lgkmcnt(5)
	v_add_f64 v[21:22], v[45:46], -v[4:5]
	v_mad_u16 v4, 0x44, v136, v139
	s_waitcnt lgkmcnt(4)
	v_add_f64 v[25:26], v[64:65], -v[51:52]
	v_mad_u16 v5, 0x44, v137, v140
	s_waitcnt lgkmcnt(2)
	v_add_f64 v[33:34], v[72:73], -v[59:60]
	v_add_f64 v[29:30], v[68:69], -v[55:56]
	v_lshlrev_b32_sdwa v52, v11, v93 dst_sel:DWORD dst_unused:UNUSED_PAD src0_sel:DWORD src1_sel:WORD_0
	v_lshlrev_b32_sdwa v51, v11, v95 dst_sel:DWORD dst_unused:UNUSED_PAD src0_sel:DWORD src1_sel:WORD_0
	s_waitcnt lgkmcnt(1)
	v_add_f64 v[37:38], v[76:77], -v[84:85]
	v_lshlrev_b32_sdwa v4, v11, v4 dst_sel:DWORD dst_unused:UNUSED_PAD src0_sel:DWORD src1_sel:WORD_0
	s_waitcnt lgkmcnt(0)
	v_add_f64 v[41:42], v[80:81], -v[88:89]
	v_fma_f64 v[45:46], v[45:46], 2.0, -v[21:22]
	v_fma_f64 v[64:65], v[64:65], 2.0, -v[25:26]
	;; [unrolled: 1-line block ×6, first 2 shown]
	v_fma_f64 v[49:50], v[2:3], v[153:154], v[49:50]
	ds_read_b128 v[0:3], v92 offset:9792
	buffer_store_dword v107, off, s[60:63], 0 offset:156 ; 4-byte Folded Spill
	buffer_store_dword v108, off, s[60:63], 0 offset:160 ; 4-byte Folded Spill
	;; [unrolled: 1-line block ×4, first 2 shown]
	v_fma_f64 v[53:54], v[19:20], v[149:150], v[53:54]
	ds_read_b128 v[17:20], v92 offset:11424
	v_fma_f64 v[57:58], v[23:24], v[120:121], v[57:58]
	v_fma_f64 v[61:62], v[27:28], v[124:125], v[61:62]
	s_waitcnt lgkmcnt(0)
	s_waitcnt_vscnt null, 0x0
	v_fma_f64 v[86:87], v[31:32], v[128:129], v[86:87]
	s_barrier
	v_fma_f64 v[90:91], v[35:36], v[141:142], v[90:91]
	buffer_gl0_inv
	v_fma_f64 v[98:99], v[39:40], v[116:117], v[98:99]
	v_add_f64 v[84:85], v[0:1], -v[96:97]
	v_add_f64 v[23:24], v[47:48], -v[49:50]
	;; [unrolled: 1-line block ×4, first 2 shown]
	v_add_lshl_u32 v53, v106, v104, 4
	v_add_f64 v[31:32], v[70:71], -v[57:58]
	v_add_f64 v[35:36], v[74:75], -v[61:62]
	v_lshlrev_b32_sdwa v101, v11, v5 dst_sel:DWORD dst_unused:UNUSED_PAD src0_sel:DWORD src1_sel:WORD_0
	v_add_f64 v[39:40], v[78:79], -v[86:87]
	v_add_lshl_u32 v5, v63, v105, 4
	buffer_store_dword v53, off, s[60:63], 0 offset:324 ; 4-byte Folded Spill
	v_add_f64 v[86:87], v[2:3], -v[98:99]
	v_fma_f64 v[0:1], v[0:1], 2.0, -v[84:85]
	v_fma_f64 v[47:48], v[47:48], 2.0, -v[23:24]
	ds_write_b128 v53, v[21:24] offset:544
	v_fma_f64 v[17:18], v[17:18], 2.0, -v[116:117]
	v_fma_f64 v[66:67], v[66:67], 2.0, -v[27:28]
	ds_write_b128 v53, v[45:48]
	ds_write_b128 v5, v[64:67]
	v_fma_f64 v[70:71], v[70:71], 2.0, -v[31:32]
	v_fma_f64 v[74:75], v[74:75], 2.0, -v[35:36]
	;; [unrolled: 1-line block ×4, first 2 shown]
	buffer_store_dword v5, off, s[60:63], 0 offset:360 ; 4-byte Folded Spill
	ds_write_b128 v5, v[25:28] offset:544
	ds_write_b128 v52, v[68:71]
	buffer_store_dword v52, off, s[60:63], 0 offset:320 ; 4-byte Folded Spill
	ds_write_b128 v52, v[29:32] offset:544
	ds_write_b128 v51, v[72:75]
	buffer_store_dword v51, off, s[60:63], 0 offset:316 ; 4-byte Folded Spill
	v_fma_f64 v[102:103], v[43:44], v[107:108], v[102:103]
	v_add_f64 v[43:44], v[82:83], -v[90:91]
	v_mad_u16 v107, 0x44, v134, v147
	v_mad_u16 v108, 0x44, v135, v148
	v_lshlrev_b32_sdwa v49, v11, v107 dst_sel:DWORD dst_unused:UNUSED_PAD src0_sel:DWORD src1_sel:WORD_0
	v_lshlrev_b32_sdwa v50, v11, v108 dst_sel:DWORD dst_unused:UNUSED_PAD src0_sel:DWORD src1_sel:WORD_0
	ds_write_b128 v51, v[33:36] offset:544
	ds_write_b128 v49, v[76:79]
	buffer_store_dword v49, off, s[60:63], 0 offset:308 ; 4-byte Folded Spill
	v_add_f64 v[118:119], v[19:20], -v[102:103]
	v_fma_f64 v[82:83], v[82:83], 2.0, -v[43:44]
	ds_write_b128 v49, v[37:40] offset:544
	ds_write_b128 v50, v[80:83]
	v_fma_f64 v[19:20], v[19:20], 2.0, -v[118:119]
	buffer_store_dword v50, off, s[60:63], 0 offset:312 ; 4-byte Folded Spill
	ds_write_b128 v50, v[41:44] offset:544
	ds_write_b128 v4, v[0:3]
	buffer_store_dword v4, off, s[60:63], 0 offset:304 ; 4-byte Folded Spill
	ds_write_b128 v4, v[84:87] offset:544
	ds_write_b128 v101, v[17:20]
	ds_write_b128 v101, v[116:119] offset:544
	s_waitcnt lgkmcnt(0)
	s_waitcnt_vscnt null, 0x0
	s_barrier
	buffer_gl0_inv
	ds_read_b128 v[68:71], v92
	ds_read_b128 v[132:135], v92 offset:1632
	ds_read_b128 v[156:159], v92 offset:17408
	;; [unrolled: 1-line block ×14, first 2 shown]
                                        ; implicit-def: $vgpr0_vgpr1
	s_and_saveexec_b32 s1, s0
	s_cbranch_execz .LBB0_9
; %bb.8:
	ds_read_b128 v[116:119], v92 offset:8160
	ds_read_b128 v[112:115], v92 offset:16864
	;; [unrolled: 1-line block ×3, first 2 shown]
.LBB0_9:
	s_or_b32 exec_lo, exec_lo, s1
	v_add_co_u32 v4, s1, 0xffffffbc, v180
	v_add_co_ci_u32_e64 v5, null, 0, -1, s1
	v_cmp_gt_u16_e64 s1, 0x44, v180
	v_lshrrev_b32_e32 v13, 22, v13
	v_lshrrev_b32_e32 v14, 22, v14
	s_mov_b32 s8, 0xe8584caa
	s_mov_b32 s9, 0x3febb67a
	v_cndmask_b32_e64 v4, v4, v180, s1
	v_cndmask_b32_e64 v5, v5, 0, s1
	s_mov_b32 s11, 0xbfebb67a
	s_mov_b32 s10, s8
	v_lshlrev_b64 v[17:18], 5, v[4:5]
	v_mul_lo_u16 v5, 0x79, v16
	v_lshrrev_b16 v16, 13, v5
	v_add_co_u32 v17, s1, s2, v17
	v_add_co_ci_u32_e64 v18, s1, s3, v18, s1
	v_mul_lo_u16 v5, 0x44, v16
	s_clause 0x1
	global_load_dwordx4 v[26:29], v[17:18], off offset:816
	global_load_dwordx4 v[30:33], v[17:18], off offset:832
	v_sub_nc_u16 v5, v15, v5
	v_mul_lo_u16 v17, 0x44, v13
	v_and_b32_e32 v15, 0xff, v5
	v_sub_nc_u16 v12, v12, v17
	v_lshlrev_b32_e32 v5, 5, v15
	s_clause 0x1
	global_load_dwordx4 v[34:37], v5, s[2:3] offset:816
	global_load_dwordx4 v[44:47], v5, s[2:3] offset:832
	v_lshlrev_b16 v5, 5, v12
	v_and_b32_e32 v5, 0xffff, v5
	v_add_co_u32 v17, s1, s2, v5
	v_add_co_ci_u32_e64 v18, null, s3, 0, s1
	v_mul_lo_u16 v5, 0x44, v14
	s_clause 0x1
	global_load_dwordx4 v[40:43], v[17:18], off offset:816
	global_load_dwordx4 v[48:51], v[17:18], off offset:832
	v_sub_nc_u16 v17, v9, v5
	v_lshlrev_b16 v5, 5, v17
	v_and_b32_e32 v5, 0xffff, v5
	v_add_co_u32 v18, s1, s2, v5
	v_add_co_ci_u32_e64 v19, null, s3, 0, s1
	s_clause 0x1
	global_load_dwordx4 v[54:57], v[18:19], off offset:816
	global_load_dwordx4 v[58:61], v[18:19], off offset:832
	s_waitcnt vmcnt(7) lgkmcnt(4)
	v_mul_f64 v[18:19], v[162:163], v[28:29]
	v_mul_f64 v[20:21], v[160:161], v[28:29]
	s_waitcnt vmcnt(6)
	v_mul_f64 v[22:23], v[158:159], v[32:33]
	v_fma_f64 v[24:25], v[160:161], v[26:27], -v[18:19]
	buffer_store_dword v26, off, s[60:63], 0 offset:288 ; 4-byte Folded Spill
	buffer_store_dword v27, off, s[60:63], 0 offset:292 ; 4-byte Folded Spill
	;; [unrolled: 1-line block ×4, first 2 shown]
	v_mul_f64 v[18:19], v[156:157], v[32:33]
	v_fma_f64 v[28:29], v[156:157], v[30:31], -v[22:23]
	buffer_store_dword v30, off, s[60:63], 0 offset:328 ; 4-byte Folded Spill
	buffer_store_dword v31, off, s[60:63], 0 offset:332 ; 4-byte Folded Spill
	;; [unrolled: 1-line block ×4, first 2 shown]
	v_fma_f64 v[20:21], v[162:163], v[26:27], v[20:21]
	s_waitcnt vmcnt(5)
	v_mul_f64 v[26:27], v[154:155], v[36:37]
	v_fma_f64 v[22:23], v[158:159], v[30:31], v[18:19]
	v_mul_f64 v[18:19], v[152:153], v[36:37]
	s_waitcnt vmcnt(4)
	v_mul_f64 v[30:31], v[150:151], v[46:47]
	v_fma_f64 v[32:33], v[152:153], v[34:35], -v[26:27]
	buffer_store_dword v34, off, s[60:63], 0 offset:344 ; 4-byte Folded Spill
	buffer_store_dword v35, off, s[60:63], 0 offset:348 ; 4-byte Folded Spill
	;; [unrolled: 1-line block ×4, first 2 shown]
	s_waitcnt vmcnt(3)
	v_mul_f64 v[26:27], v[142:143], v[42:43]
	v_fma_f64 v[36:37], v[148:149], v[44:45], -v[30:31]
	s_waitcnt vmcnt(2)
	v_mul_f64 v[30:31], v[146:147], v[50:51]
	v_fma_f64 v[34:35], v[154:155], v[34:35], v[18:19]
	v_mul_f64 v[18:19], v[148:149], v[46:47]
	buffer_store_dword v44, off, s[60:63], 0 offset:380 ; 4-byte Folded Spill
	buffer_store_dword v45, off, s[60:63], 0 offset:384 ; 4-byte Folded Spill
	;; [unrolled: 1-line block ×4, first 2 shown]
	v_fma_f64 v[46:47], v[144:145], v[48:49], -v[30:31]
	s_waitcnt vmcnt(1) lgkmcnt(2)
	v_mul_f64 v[30:31], v[108:109], v[56:57]
	v_fma_f64 v[38:39], v[150:151], v[44:45], v[18:19]
	v_mul_f64 v[18:19], v[140:141], v[42:43]
	v_fma_f64 v[44:45], v[140:141], v[40:41], -v[26:27]
	buffer_store_dword v40, off, s[60:63], 0 offset:364 ; 4-byte Folded Spill
	buffer_store_dword v41, off, s[60:63], 0 offset:368 ; 4-byte Folded Spill
	;; [unrolled: 1-line block ×4, first 2 shown]
	v_mul_f64 v[26:27], v[110:111], v[56:57]
	v_fma_f64 v[52:53], v[108:109], v[54:55], -v[26:27]
	s_waitcnt vmcnt(0)
	v_mul_f64 v[26:27], v[104:105], v[60:61]
	v_fma_f64 v[40:41], v[142:143], v[40:41], v[18:19]
	v_mul_f64 v[18:19], v[144:145], v[50:51]
	buffer_store_dword v48, off, s[60:63], 0 offset:416 ; 4-byte Folded Spill
	buffer_store_dword v49, off, s[60:63], 0 offset:420 ; 4-byte Folded Spill
	;; [unrolled: 1-line block ×8, first 2 shown]
	v_fma_f64 v[42:43], v[146:147], v[48:49], v[18:19]
	v_lshrrev_b32_e32 v18, 22, v10
	v_mul_f64 v[9:10], v[106:107], v[60:61]
	v_fma_f64 v[54:55], v[110:111], v[54:55], v[30:31]
	v_mul_lo_u16 v5, 0x44, v18
	v_sub_nc_u16 v19, v7, v5
	v_lshlrev_b16 v5, 5, v19
	v_and_b32_e32 v5, 0xffff, v5
	v_fma_f64 v[56:57], v[104:105], v[58:59], -v[9:10]
	buffer_store_dword v58, off, s[60:63], 0 offset:476 ; 4-byte Folded Spill
	buffer_store_dword v59, off, s[60:63], 0 offset:480 ; 4-byte Folded Spill
	;; [unrolled: 1-line block ×4, first 2 shown]
	v_add_co_u32 v30, s1, s2, v5
	v_lshrrev_b32_e32 v5, 22, v8
	v_add_co_ci_u32_e64 v31, null, s3, 0, s1
	v_mul_lo_u16 v5, 0x44, v5
	v_sub_nc_u16 v5, v6, v5
	v_fma_f64 v[58:59], v[106:107], v[58:59], v[26:27]
	s_clause 0x1
	global_load_dwordx4 v[104:107], v[30:31], off offset:816
	global_load_dwordx4 v[108:111], v[30:31], off offset:832
	buffer_store_dword v5, off, s[60:63], 0 offset:284 ; 4-byte Folded Spill
	v_lshlrev_b16 v5, 5, v5
	v_add_f64 v[26:27], v[20:21], v[22:23]
	v_and_b32_e32 v5, 0xffff, v5
	v_add_co_u32 v5, s1, s2, v5
	v_add_co_ci_u32_e64 v6, null, s3, 0, s1
	s_clause 0x1
	global_load_dwordx4 v[48:51], v[5:6], off offset:816
	global_load_dwordx4 v[64:67], v[5:6], off offset:832
	v_cmp_lt_u16_e64 s1, 0x43, v180
	v_fma_f64 v[30:31], v[26:27], -0.5, v[70:71]
	v_add_f64 v[26:27], v[70:71], v[20:21]
	v_add_f64 v[70:71], v[40:41], -v[42:43]
	s_waitcnt vmcnt(3) lgkmcnt(1)
	v_mul_f64 v[9:10], v[138:139], v[106:107]
	s_waitcnt vmcnt(1)
	v_mul_f64 v[5:6], v[114:115], v[50:51]
	v_mul_f64 v[7:8], v[112:113], v[50:51]
	v_fma_f64 v[60:61], v[136:137], v[104:105], -v[9:10]
	v_mul_f64 v[9:10], v[136:137], v[106:107]
	v_fma_f64 v[5:6], v[112:113], v[48:49], -v[5:6]
	buffer_store_dword v48, off, s[60:63], 0 offset:508 ; 4-byte Folded Spill
	buffer_store_dword v49, off, s[60:63], 0 offset:512 ; 4-byte Folded Spill
	buffer_store_dword v50, off, s[60:63], 0 offset:516 ; 4-byte Folded Spill
	buffer_store_dword v51, off, s[60:63], 0 offset:520 ; 4-byte Folded Spill
	v_add_f64 v[50:51], v[20:21], -v[22:23]
	v_add_f64 v[22:23], v[26:27], v[22:23]
	v_fma_f64 v[62:63], v[138:139], v[104:105], v[9:10]
	s_waitcnt lgkmcnt(0)
	v_mul_f64 v[9:10], v[74:75], v[110:111]
	v_fma_f64 v[76:77], v[72:73], v[108:109], -v[9:10]
	v_mul_f64 v[9:10], v[72:73], v[110:111]
	v_add_f64 v[72:73], v[124:125], v[52:53]
	v_fma_f64 v[78:79], v[74:75], v[108:109], v[9:10]
	v_fma_f64 v[9:10], v[114:115], v[48:49], v[7:8]
	s_waitcnt vmcnt(0)
	v_mul_f64 v[7:8], v[2:3], v[66:67]
	v_add_f64 v[48:49], v[68:69], v[24:25]
	v_fma_f64 v[7:8], v[0:1], v[64:65], -v[7:8]
	v_mul_f64 v[0:1], v[0:1], v[66:67]
	buffer_store_dword v64, off, s[60:63], 0 offset:524 ; 4-byte Folded Spill
	buffer_store_dword v65, off, s[60:63], 0 offset:528 ; 4-byte Folded Spill
	;; [unrolled: 1-line block ×4, first 2 shown]
	v_add_f64 v[20:21], v[48:49], v[28:29]
	v_add_f64 v[48:49], v[24:25], -v[28:29]
	s_waitcnt_vscnt null, 0x0
	s_barrier
	buffer_gl0_inv
	v_fma_f64 v[26:27], v[48:49], s[10:11], v[30:31]
	v_fma_f64 v[30:31], v[48:49], s[8:9], v[30:31]
	;; [unrolled: 1-line block ×3, first 2 shown]
	v_add_f64 v[2:3], v[24:25], v[28:29]
	v_fma_f64 v[2:3], v[2:3], -0.5, v[68:69]
	v_add_f64 v[68:69], v[128:129], v[44:45]
	v_fma_f64 v[24:25], v[50:51], s[8:9], v[2:3]
	v_fma_f64 v[28:29], v[50:51], s[10:11], v[2:3]
	v_cndmask_b32_e64 v2, 0, 0xcc, s1
	v_add_f64 v[50:51], v[132:133], v[32:33]
	v_add_lshl_u32 v4, v4, v2, 4
	v_add_f64 v[2:3], v[32:33], v[36:37]
	ds_write_b128 v4, v[20:23]
	v_add_f64 v[20:21], v[34:35], v[38:39]
	v_fma_f64 v[2:3], v[2:3], -0.5, v[132:133]
	v_fma_f64 v[48:49], v[20:21], -0.5, v[134:135]
	v_add_f64 v[20:21], v[134:135], v[34:35]
	v_add_f64 v[34:35], v[34:35], -v[38:39]
	v_add_f64 v[22:23], v[20:21], v[38:39]
	v_add_f64 v[38:39], v[32:33], -v[36:37]
	v_add_f64 v[20:21], v[50:51], v[36:37]
	v_fma_f64 v[32:33], v[34:35], s[8:9], v[2:3]
	v_fma_f64 v[36:37], v[34:35], s[10:11], v[2:3]
	v_add_f64 v[2:3], v[44:45], v[46:47]
	v_fma_f64 v[34:35], v[38:39], s[10:11], v[48:49]
	v_fma_f64 v[38:39], v[38:39], s[8:9], v[48:49]
	v_add_f64 v[48:49], v[40:41], v[42:43]
	v_fma_f64 v[2:3], v[2:3], -0.5, v[128:129]
	v_fma_f64 v[50:51], v[48:49], -0.5, v[130:131]
	v_add_f64 v[48:49], v[130:131], v[40:41]
	v_add_f64 v[40:41], v[68:69], v[46:47]
	v_add_f64 v[68:69], v[44:45], -v[46:47]
	v_fma_f64 v[44:45], v[70:71], s[8:9], v[2:3]
	v_add_f64 v[42:43], v[48:49], v[42:43]
	v_fma_f64 v[48:49], v[70:71], s[10:11], v[2:3]
	v_fma_f64 v[46:47], v[68:69], s[10:11], v[50:51]
	;; [unrolled: 1-line block ×3, first 2 shown]
	v_add_f64 v[2:3], v[52:53], v[56:57]
	v_add_f64 v[68:69], v[54:55], v[58:59]
	v_add_f64 v[52:53], v[52:53], -v[56:57]
	v_fma_f64 v[2:3], v[2:3], -0.5, v[124:125]
	v_fma_f64 v[80:81], v[68:69], -0.5, v[126:127]
	v_add_f64 v[68:69], v[126:127], v[54:55]
	v_add_f64 v[54:55], v[54:55], -v[58:59]
	v_fma_f64 v[74:75], v[52:53], s[10:11], v[80:81]
	v_add_f64 v[70:71], v[68:69], v[58:59]
	v_add_f64 v[68:69], v[72:73], v[56:57]
	v_fma_f64 v[72:73], v[54:55], s[8:9], v[2:3]
	v_fma_f64 v[112:113], v[54:55], s[10:11], v[2:3]
	v_add_f64 v[2:3], v[60:61], v[76:77]
	v_fma_f64 v[114:115], v[52:53], s[8:9], v[80:81]
	v_add_f64 v[52:53], v[62:63], v[78:79]
	v_add_f64 v[54:55], v[122:123], v[62:63]
	v_add_f64 v[58:59], v[62:63], -v[78:79]
	v_add_f64 v[56:57], v[120:121], v[60:61]
	v_fma_f64 v[2:3], v[2:3], -0.5, v[120:121]
	v_fma_f64 v[52:53], v[52:53], -0.5, v[122:123]
	v_add_f64 v[122:123], v[54:55], v[78:79]
	v_add_f64 v[54:55], v[60:61], -v[76:77]
	v_add_f64 v[120:121], v[56:57], v[76:77]
	v_fma_f64 v[124:125], v[58:59], s[8:9], v[2:3]
	v_fma_f64 v[128:129], v[58:59], s[10:11], v[2:3]
	v_add_f64 v[2:3], v[5:6], v[7:8]
	v_fma_f64 v[126:127], v[54:55], s[10:11], v[52:53]
	v_fma_f64 v[130:131], v[54:55], s[8:9], v[52:53]
	v_add_f64 v[52:53], v[9:10], v[0:1]
	v_add_f64 v[54:55], v[9:10], -v[0:1]
	v_fma_f64 v[2:3], v[2:3], -0.5, v[116:117]
	v_fma_f64 v[52:53], v[52:53], -0.5, v[118:119]
	v_fma_f64 v[172:173], v[54:55], s[8:9], v[2:3]
	v_fma_f64 v[54:55], v[54:55], s[10:11], v[2:3]
	v_add_f64 v[2:3], v[5:6], -v[7:8]
	v_fma_f64 v[56:57], v[2:3], s[8:9], v[52:53]
	v_fma_f64 v[174:175], v[2:3], s[10:11], v[52:53]
	v_mov_b32_e32 v2, 0xcc
	buffer_store_dword v54, off, s[60:63], 0 offset:12 ; 4-byte Folded Spill
	buffer_store_dword v55, off, s[60:63], 0 offset:16 ; 4-byte Folded Spill
	;; [unrolled: 1-line block ×4, first 2 shown]
	ds_write_b128 v4, v[24:27] offset:1088
	buffer_store_dword v4, off, s[60:63], 0 offset:460 ; 4-byte Folded Spill
	ds_write_b128 v4, v[28:31] offset:2176
	v_mul_u32_u24_sdwa v2, v16, v2 dst_sel:DWORD dst_unused:UNUSED_PAD src0_sel:WORD_0 src1_sel:DWORD
	v_mad_u16 v3, 0xcc, v13, v12
	v_mad_u16 v4, 0xcc, v14, v17
	;; [unrolled: 1-line block ×3, first 2 shown]
	v_add_lshl_u32 v13, v2, v15, 4
	v_lshlrev_b32_sdwa v3, v11, v3 dst_sel:DWORD dst_unused:UNUSED_PAD src0_sel:DWORD src1_sel:WORD_0
	v_lshlrev_b32_sdwa v2, v11, v4 dst_sel:DWORD dst_unused:UNUSED_PAD src0_sel:DWORD src1_sel:WORD_0
	;; [unrolled: 1-line block ×3, first 2 shown]
	ds_write_b128 v13, v[20:23]
	ds_write_b128 v13, v[32:35] offset:1088
	buffer_store_dword v13, off, s[60:63], 0 offset:472 ; 4-byte Folded Spill
	ds_write_b128 v13, v[36:39] offset:2176
	ds_write_b128 v3, v[40:43]
	ds_write_b128 v3, v[44:47] offset:1088
	buffer_store_dword v3, off, s[60:63], 0 offset:468 ; 4-byte Folded Spill
	ds_write_b128 v3, v[48:51] offset:2176
	;; [unrolled: 4-line block ×3, first 2 shown]
	ds_write_b128 v93, v[120:123]
	ds_write_b128 v93, v[124:127] offset:1088
	ds_write_b128 v93, v[128:131] offset:2176
	s_and_saveexec_b32 s1, s0
	s_cbranch_execz .LBB0_11
; %bb.10:
	v_add_f64 v[2:3], v[118:119], v[9:10]
	v_add_f64 v[4:5], v[116:117], v[5:6]
	;; [unrolled: 1-line block ×4, first 2 shown]
	buffer_load_dword v5, off, s[60:63], 0 offset:284 ; 4-byte Folded Reload
	v_mov_b32_e32 v4, 4
	s_waitcnt vmcnt(0)
	v_lshlrev_b32_sdwa v4, v4, v5 dst_sel:DWORD dst_unused:UNUSED_PAD src0_sel:DWORD src1_sel:WORD_0
	ds_write_b128 v4, v[172:175] offset:23936
	ds_write_b128 v4, v[0:3] offset:22848
	s_clause 0x3
	buffer_load_dword v0, off, s[60:63], 0 offset:12
	buffer_load_dword v1, off, s[60:63], 0 offset:16
	;; [unrolled: 1-line block ×4, first 2 shown]
	s_waitcnt vmcnt(0)
	ds_write_b128 v4, v[0:3] offset:25024
.LBB0_11:
	s_or_b32 exec_lo, exec_lo, s1
	v_mad_u64_u32 v[0:1], null, 0x70, v180, s[2:3]
	s_waitcnt lgkmcnt(0)
	s_waitcnt_vscnt null, 0x0
	s_barrier
	buffer_gl0_inv
	s_mov_b32 s2, 0x667f3bcd
	s_mov_b32 s3, 0xbfe6a09e
	;; [unrolled: 1-line block ×3, first 2 shown]
	v_add_co_u32 v2, s1, 0x800, v0
	v_add_co_ci_u32_e64 v3, s1, 0, v1, s1
	v_add_co_u32 v4, s1, 0xbb0, v0
	v_add_co_ci_u32_e64 v5, s1, 0, v1, s1
	global_load_dwordx4 v[116:119], v[2:3], off offset:944
	v_add_co_u32 v6, s1, 0xbf0, v0
	s_clause 0x1
	global_load_dwordx4 v[124:127], v[4:5], off offset:16
	global_load_dwordx4 v[120:123], v[4:5], off offset:32
	v_add_co_ci_u32_e64 v7, s1, 0, v1, s1
	s_clause 0x3
	global_load_dwordx4 v[128:131], v[4:5], off offset:48
	global_load_dwordx4 v[140:143], v[6:7], off offset:16
	;; [unrolled: 1-line block ×4, first 2 shown]
	v_add_co_u32 v2, s1, 0x3800, v0
	v_add_co_ci_u32_e64 v3, s1, 0, v1, s1
	v_add_co_u32 v4, s1, 0x3850, v0
	v_add_co_ci_u32_e64 v5, s1, 0, v1, s1
	s_clause 0x1
	global_load_dwordx4 v[148:151], v[2:3], off offset:80
	global_load_dwordx4 v[144:147], v[4:5], off offset:16
	v_add_co_u32 v0, s1, 0x3890, v0
	v_add_co_ci_u32_e64 v1, s1, 0, v1, s1
	s_clause 0x4
	global_load_dwordx4 v[156:159], v[4:5], off offset:48
	global_load_dwordx4 v[152:155], v[0:1], off offset:16
	;; [unrolled: 1-line block ×5, first 2 shown]
	ds_read_b128 v[0:3], v92 offset:3264
	ds_read_b128 v[4:7], v92 offset:6528
	;; [unrolled: 1-line block ×12, first 2 shown]
	s_mov_b32 s8, s2
	s_waitcnt vmcnt(13) lgkmcnt(11)
	v_mul_f64 v[48:49], v[2:3], v[118:119]
	v_mul_f64 v[50:51], v[0:1], v[118:119]
	s_waitcnt vmcnt(12) lgkmcnt(10)
	v_mul_f64 v[52:53], v[6:7], v[126:127]
	s_waitcnt vmcnt(11) lgkmcnt(9)
	v_mul_f64 v[56:57], v[10:11], v[122:123]
	v_mul_f64 v[58:59], v[8:9], v[122:123]
	s_waitcnt vmcnt(10) lgkmcnt(8)
	v_mul_f64 v[60:61], v[14:15], v[130:131]
	;; [unrolled: 3-line block ×3, first 2 shown]
	v_mul_f64 v[70:71], v[16:17], v[142:143]
	v_mul_f64 v[54:55], v[4:5], v[126:127]
	v_fma_f64 v[48:49], v[0:1], v[116:117], -v[48:49]
	v_fma_f64 v[50:51], v[2:3], v[116:117], v[50:51]
	ds_read_b128 v[0:3], v92 offset:17952
	v_fma_f64 v[8:9], v[8:9], v[120:121], -v[56:57]
	s_waitcnt vmcnt(8) lgkmcnt(2)
	v_mul_f64 v[56:57], v[46:47], v[138:139]
	v_fma_f64 v[10:11], v[10:11], v[120:121], v[58:59]
	v_mul_f64 v[58:59], v[44:45], v[138:139]
	v_fma_f64 v[12:13], v[12:13], v[128:129], -v[60:61]
	s_waitcnt vmcnt(7)
	v_mul_f64 v[60:61], v[26:27], v[134:135]
	v_fma_f64 v[14:15], v[14:15], v[128:129], v[62:63]
	v_fma_f64 v[16:17], v[16:17], v[140:141], -v[68:69]
	v_mul_f64 v[62:63], v[24:25], v[134:135]
	s_waitcnt vmcnt(6)
	v_mul_f64 v[68:69], v[22:23], v[150:151]
	v_fma_f64 v[52:53], v[4:5], v[124:125], -v[52:53]
	v_fma_f64 v[54:55], v[6:7], v[124:125], v[54:55]
	ds_read_b128 v[4:7], v92 offset:24480
	v_fma_f64 v[18:19], v[18:19], v[140:141], v[70:71]
	v_fma_f64 v[44:45], v[44:45], v[136:137], -v[56:57]
	v_mul_f64 v[56:57], v[20:21], v[150:151]
	v_fma_f64 v[46:47], v[46:47], v[136:137], v[58:59]
	s_waitcnt vmcnt(5)
	v_mul_f64 v[58:59], v[30:31], v[146:147]
	v_fma_f64 v[24:25], v[24:25], v[132:133], -v[60:61]
	v_mul_f64 v[60:61], v[28:29], v[146:147]
	v_fma_f64 v[26:27], v[26:27], v[132:133], v[62:63]
	s_waitcnt vmcnt(4)
	v_mul_f64 v[62:63], v[34:35], v[158:159]
	v_fma_f64 v[20:21], v[20:21], v[148:149], -v[68:69]
	s_waitcnt vmcnt(3) lgkmcnt(2)
	v_mul_f64 v[68:69], v[42:43], v[154:155]
	s_waitcnt vmcnt(0) lgkmcnt(0)
	v_mul_f64 v[70:71], v[4:5], v[170:171]
	v_add_f64 v[16:17], v[52:53], -v[16:17]
	v_add_f64 v[18:19], v[54:55], -v[18:19]
	;; [unrolled: 1-line block ×3, first 2 shown]
	v_fma_f64 v[22:23], v[22:23], v[148:149], v[56:57]
	v_mul_f64 v[56:57], v[32:33], v[158:159]
	v_fma_f64 v[28:29], v[28:29], v[144:145], -v[58:59]
	v_mul_f64 v[58:59], v[40:41], v[154:155]
	v_fma_f64 v[30:31], v[30:31], v[144:145], v[60:61]
	v_mul_f64 v[60:61], v[2:3], v[162:163]
	v_add_f64 v[46:47], v[50:51], -v[46:47]
	v_fma_f64 v[32:33], v[32:33], v[156:157], -v[62:63]
	v_mul_f64 v[62:63], v[38:39], v[166:167]
	v_fma_f64 v[40:41], v[40:41], v[152:153], -v[68:69]
	v_mul_f64 v[68:69], v[6:7], v[170:171]
	v_add_f64 v[26:27], v[10:11], -v[26:27]
	v_add_f64 v[24:25], v[8:9], -v[24:25]
	v_fma_f64 v[34:35], v[34:35], v[156:157], v[56:57]
	v_mul_f64 v[56:57], v[0:1], v[162:163]
	v_fma_f64 v[42:43], v[42:43], v[152:153], v[58:59]
	v_mul_f64 v[58:59], v[36:37], v[166:167]
	v_fma_f64 v[60:61], v[0:1], v[160:161], -v[60:61]
	v_fma_f64 v[36:37], v[36:37], v[164:165], -v[62:63]
	v_fma_f64 v[62:63], v[6:7], v[168:169], v[70:71]
	v_add_f64 v[40:41], v[28:29], -v[40:41]
	v_add_f64 v[72:73], v[44:45], -v[26:27]
	v_add_f64 v[74:75], v[46:47], v[24:25]
	v_fma_f64 v[8:9], v[8:9], 2.0, -v[24:25]
	v_fma_f64 v[10:11], v[10:11], 2.0, -v[26:27]
	v_fma_f64 v[56:57], v[2:3], v[160:161], v[56:57]
	ds_read_b128 v[0:3], v92
	v_fma_f64 v[38:39], v[38:39], v[164:165], v[58:59]
	v_fma_f64 v[58:59], v[4:5], v[168:169], -v[68:69]
	ds_read_b128 v[4:7], v92 offset:1632
	v_add_f64 v[42:43], v[30:31], -v[42:43]
	v_add_f64 v[60:61], v[20:21], -v[60:61]
	v_fma_f64 v[28:29], v[28:29], 2.0, -v[40:41]
	s_waitcnt lgkmcnt(1)
	v_add_f64 v[12:13], v[0:1], -v[12:13]
	v_add_f64 v[14:15], v[2:3], -v[14:15]
	;; [unrolled: 1-line block ×3, first 2 shown]
	s_waitcnt lgkmcnt(0)
	v_add_f64 v[32:33], v[4:5], -v[32:33]
	v_add_f64 v[34:35], v[6:7], -v[34:35]
	;; [unrolled: 1-line block ×4, first 2 shown]
	v_fma_f64 v[20:21], v[20:21], 2.0, -v[60:61]
	v_fma_f64 v[30:31], v[30:31], 2.0, -v[42:43]
	v_add_f64 v[68:69], v[12:13], -v[18:19]
	v_add_f64 v[70:71], v[14:15], v[16:17]
	v_fma_f64 v[0:1], v[0:1], 2.0, -v[12:13]
	v_fma_f64 v[2:3], v[2:3], 2.0, -v[14:15]
	;; [unrolled: 1-line block ×9, first 2 shown]
	v_fma_f64 v[76:77], v[72:73], s[8:9], v[68:69]
	v_fma_f64 v[78:79], v[74:75], s[8:9], v[70:71]
	v_fma_f64 v[12:13], v[12:13], 2.0, -v[68:69]
	v_fma_f64 v[14:15], v[14:15], 2.0, -v[70:71]
	v_add_f64 v[28:29], v[4:5], -v[28:29]
	v_add_f64 v[30:31], v[6:7], -v[30:31]
	;; [unrolled: 1-line block ×6, first 2 shown]
	v_fma_f64 v[208:209], v[74:75], s[2:3], v[76:77]
	v_fma_f64 v[210:211], v[72:73], s[8:9], v[78:79]
	v_fma_f64 v[72:73], v[44:45], 2.0, -v[72:73]
	v_fma_f64 v[74:75], v[46:47], 2.0, -v[74:75]
	;; [unrolled: 1-line block ×10, first 2 shown]
	v_add_f64 v[192:193], v[28:29], -v[26:27]
	v_add_f64 v[194:195], v[30:31], v[24:25]
	v_fma_f64 v[232:233], v[68:69], 2.0, -v[208:209]
	v_fma_f64 v[234:235], v[70:71], 2.0, -v[210:211]
	v_fma_f64 v[76:77], v[72:73], s[2:3], v[12:13]
	v_fma_f64 v[78:79], v[74:75], s[2:3], v[14:15]
	v_add_f64 v[8:9], v[44:45], -v[8:9]
	v_add_f64 v[10:11], v[46:47], -v[10:11]
	;; [unrolled: 1-line block ×4, first 2 shown]
	v_fma_f64 v[204:205], v[28:29], 2.0, -v[192:193]
	v_fma_f64 v[206:207], v[30:31], 2.0, -v[194:195]
	v_fma_f64 v[212:213], v[74:75], s[2:3], v[76:77]
	v_fma_f64 v[214:215], v[72:73], s[8:9], v[78:79]
	v_add_f64 v[72:73], v[32:33], -v[42:43]
	v_add_f64 v[74:75], v[34:35], v[40:41]
	v_add_f64 v[76:77], v[60:61], -v[62:63]
	v_add_f64 v[78:79], v[56:57], v[58:59]
	v_fma_f64 v[36:37], v[44:45], 2.0, -v[8:9]
	v_fma_f64 v[38:39], v[46:47], 2.0, -v[10:11]
	v_add_f64 v[220:221], v[16:17], -v[10:11]
	v_add_f64 v[222:223], v[18:19], v[8:9]
	v_fma_f64 v[224:225], v[4:5], 2.0, -v[196:197]
	v_fma_f64 v[226:227], v[6:7], 2.0, -v[198:199]
	;; [unrolled: 1-line block ×6, first 2 shown]
	v_fma_f64 v[80:81], v[76:77], s[8:9], v[72:73]
	v_fma_f64 v[82:83], v[78:79], s[8:9], v[74:75]
	v_add_f64 v[228:229], v[0:1], -v[36:37]
	v_add_f64 v[230:231], v[2:3], -v[38:39]
	v_fma_f64 v[236:237], v[16:17], 2.0, -v[220:221]
	v_fma_f64 v[238:239], v[18:19], 2.0, -v[222:223]
	v_fma_f64 v[184:185], v[78:79], s[2:3], v[80:81]
	v_fma_f64 v[186:187], v[76:77], s[8:9], v[82:83]
	v_fma_f64 v[76:77], v[60:61], 2.0, -v[76:77]
	v_fma_f64 v[78:79], v[56:57], 2.0, -v[78:79]
	;; [unrolled: 1-line block ×6, first 2 shown]
	v_fma_f64 v[80:81], v[76:77], s[2:3], v[32:33]
	v_fma_f64 v[82:83], v[78:79], s[2:3], v[34:35]
	;; [unrolled: 1-line block ×4, first 2 shown]
	v_fma_f64 v[216:217], v[32:33], 2.0, -v[188:189]
	v_fma_f64 v[218:219], v[34:35], 2.0, -v[190:191]
	ds_write_b128 v92, v[220:223] offset:19584
	ds_write_b128 v92, v[208:211] offset:22848
	;; [unrolled: 1-line block ×12, first 2 shown]
	ds_write_b128 v92, v[180:183]
	ds_write_b128 v92, v[240:243] offset:3264
	ds_write_b128 v92, v[224:227] offset:1632
	;; [unrolled: 1-line block ×3, first 2 shown]
	s_waitcnt lgkmcnt(0)
	s_barrier
	buffer_gl0_inv
	s_and_saveexec_b32 s8, vcc_lo
	s_cbranch_execz .LBB0_13
; %bb.12:
	s_add_u32 s2, s12, 0x6600
	s_addc_u32 s3, s13, 0
	v_add_co_u32 v4, s1, s2, v94
	s_clause 0x1
	global_load_dwordx4 v[244:247], v94, s[2:3]
	global_load_dwordx4 v[176:179], v94, s[2:3] offset:1536
	v_add_co_ci_u32_e64 v5, null, s3, 0, s1
	v_add_co_u32 v0, s1, 0x800, v4
	v_or_b32_e32 v6, 0x1800, v94
	v_add_co_ci_u32_e64 v1, s1, 0, v5, s1
	v_add_co_u32 v2, s1, 0x1000, v4
	v_add_co_ci_u32_e64 v3, s1, 0, v5, s1
	s_clause 0x2
	global_load_dwordx4 v[112:115], v[0:1], off offset:1024
	global_load_dwordx4 v[252:255], v[2:3], off offset:512
	global_load_dwordx4 v[248:251], v6, s[2:3]
	v_add_co_u32 v0, s1, 0x1800, v4
	v_add_co_ci_u32_e64 v1, s1, 0, v5, s1
	v_add_co_u32 v2, s1, 0x2000, v4
	v_add_co_ci_u32_e64 v3, s1, 0, v5, s1
	global_load_dwordx4 v[68:71], v[0:1], off offset:1536
	v_or_b32_e32 v6, 0x3000, v94
	v_or_b32_e32 v22, 0x4800, v94
	global_load_dwordx4 v[72:75], v[2:3], off offset:1024
	v_add_co_u32 v0, s1, 0x2800, v4
	v_add_co_ci_u32_e64 v1, s1, 0, v5, s1
	v_add_co_u32 v10, s1, 0x3000, v4
	v_add_co_ci_u32_e64 v11, s1, 0, v5, s1
	s_clause 0x1
	global_load_dwordx4 v[0:3], v[0:1], off offset:512
	global_load_dwordx4 v[6:9], v6, s[2:3]
	v_add_co_u32 v14, s1, 0x3800, v4
	global_load_dwordx4 v[10:13], v[10:11], off offset:1536
	v_add_co_ci_u32_e64 v15, s1, 0, v5, s1
	v_add_co_u32 v18, s1, 0x4000, v4
	v_add_co_ci_u32_e64 v19, s1, 0, v5, s1
	v_add_co_u32 v26, s1, 0x4800, v4
	;; [unrolled: 2-line block ×4, first 2 shown]
	s_clause 0x1
	global_load_dwordx4 v[14:17], v[14:15], off offset:1024
	global_load_dwordx4 v[18:21], v[18:19], off offset:512
	v_add_co_ci_u32_e64 v5, s1, 0, v5, s1
	v_or_b32_e32 v38, 0x6000, v94
	s_clause 0x4
	global_load_dwordx4 v[22:25], v22, s[2:3]
	global_load_dwordx4 v[26:29], v[26:27], off offset:1536
	global_load_dwordx4 v[30:33], v[30:31], off offset:1024
	;; [unrolled: 1-line block ×3, first 2 shown]
	global_load_dwordx4 v[38:41], v38, s[2:3]
	ds_read_b128 v[42:45], v92
	s_waitcnt vmcnt(16) lgkmcnt(0)
	v_mul_f64 v[4:5], v[44:45], v[246:247]
	v_mul_f64 v[46:47], v[42:43], v[246:247]
	v_fma_f64 v[42:43], v[42:43], v[244:245], -v[4:5]
	v_fma_f64 v[44:45], v[44:45], v[244:245], v[46:47]
	ds_write_b128 v92, v[42:45]
	ds_read_b128 v[42:45], v94 offset:1536
	ds_read_b128 v[46:49], v94 offset:3072
	;; [unrolled: 1-line block ×9, first 2 shown]
	s_waitcnt vmcnt(15) lgkmcnt(8)
	v_mul_f64 v[4:5], v[44:45], v[178:179]
	v_mul_f64 v[62:63], v[42:43], v[178:179]
	s_waitcnt vmcnt(14) lgkmcnt(7)
	v_mul_f64 v[88:89], v[48:49], v[114:115]
	v_mul_f64 v[90:91], v[46:47], v[114:115]
	;; [unrolled: 3-line block ×6, first 2 shown]
	v_fma_f64 v[42:43], v[42:43], v[176:177], -v[4:5]
	v_fma_f64 v[44:45], v[44:45], v[176:177], v[62:63]
	ds_read_b128 v[176:179], v94 offset:13824
	v_mul_f64 v[62:63], v[60:61], v[74:75]
	v_mul_f64 v[74:75], v[58:59], v[74:75]
	v_fma_f64 v[46:47], v[46:47], v[112:113], -v[88:89]
	v_fma_f64 v[48:49], v[48:49], v[112:113], v[90:91]
	v_mul_f64 v[88:89], v[78:79], v[2:3]
	v_mul_f64 v[90:91], v[76:77], v[2:3]
	v_fma_f64 v[2:3], v[244:245], v[252:253], -v[114:115]
	v_fma_f64 v[4:5], v[246:247], v[252:253], v[254:255]
	ds_read_b128 v[112:115], v94 offset:16896
	ds_read_b128 v[244:247], v94 offset:18432
	v_fma_f64 v[50:51], v[50:51], v[248:249], -v[64:65]
	v_fma_f64 v[52:53], v[52:53], v[248:249], v[66:67]
	ds_read_b128 v[248:251], v94 offset:19968
	ds_read_b128 v[252:255], v94 offset:21504
	v_fma_f64 v[54:55], v[54:55], v[68:69], -v[95:96]
	v_fma_f64 v[56:57], v[56:57], v[68:69], v[70:71]
	ds_read_b128 v[68:71], v94 offset:23040
	v_fma_f64 v[80:81], v[80:81], v[6:7], -v[97:98]
	v_fma_f64 v[82:83], v[82:83], v[6:7], v[8:9]
	s_waitcnt vmcnt(7) lgkmcnt(5)
	v_mul_f64 v[64:65], v[178:179], v[12:13]
	v_mul_f64 v[12:13], v[176:177], v[12:13]
	v_fma_f64 v[58:59], v[58:59], v[72:73], -v[62:63]
	v_fma_f64 v[60:61], v[60:61], v[72:73], v[74:75]
	ds_read_b128 v[72:75], v94 offset:24576
	s_waitcnt vmcnt(6)
	v_mul_f64 v[62:63], v[86:87], v[16:17]
	v_mul_f64 v[16:17], v[84:85], v[16:17]
	v_fma_f64 v[76:77], v[76:77], v[0:1], -v[88:89]
	v_fma_f64 v[78:79], v[78:79], v[0:1], v[90:91]
	s_waitcnt vmcnt(5) lgkmcnt(5)
	v_mul_f64 v[0:1], v[114:115], v[20:21]
	v_mul_f64 v[20:21], v[112:113], v[20:21]
	s_waitcnt vmcnt(4) lgkmcnt(4)
	v_mul_f64 v[66:67], v[246:247], v[24:25]
	v_mul_f64 v[24:25], v[244:245], v[24:25]
	;; [unrolled: 3-line block ×4, first 2 shown]
	v_fma_f64 v[6:7], v[176:177], v[10:11], -v[64:65]
	s_waitcnt vmcnt(1) lgkmcnt(1)
	v_mul_f64 v[64:65], v[70:71], v[36:37]
	v_mul_f64 v[36:37], v[68:69], v[36:37]
	s_waitcnt vmcnt(0) lgkmcnt(0)
	v_mul_f64 v[95:96], v[74:75], v[40:41]
	v_mul_f64 v[40:41], v[72:73], v[40:41]
	v_fma_f64 v[8:9], v[178:179], v[10:11], v[12:13]
	v_fma_f64 v[10:11], v[84:85], v[14:15], -v[62:63]
	v_fma_f64 v[12:13], v[86:87], v[14:15], v[16:17]
	v_fma_f64 v[14:15], v[112:113], v[18:19], -v[0:1]
	;; [unrolled: 2-line block ×7, first 2 shown]
	v_fma_f64 v[36:37], v[74:75], v[38:39], v[40:41]
	ds_write_b128 v94, v[42:45] offset:1536
	ds_write_b128 v94, v[46:49] offset:3072
	;; [unrolled: 1-line block ×16, first 2 shown]
.LBB0_13:
	s_or_b32 exec_lo, exec_lo, s8
	s_waitcnt lgkmcnt(0)
	s_barrier
	buffer_gl0_inv
	s_and_saveexec_b32 s1, vcc_lo
	s_cbranch_execz .LBB0_15
; %bb.14:
	ds_read_b128 v[180:183], v92
	ds_read_b128 v[240:243], v92 offset:1536
	ds_read_b128 v[236:239], v92 offset:3072
	;; [unrolled: 1-line block ×16, first 2 shown]
.LBB0_15:
	s_or_b32 exec_lo, exec_lo, s1
	s_waitcnt lgkmcnt(0)
	v_add_f64 v[46:47], v[242:243], -v[174:175]
	s_mov_b32 s8, 0x5d8e7cdc
	s_mov_b32 s9, 0xbfd71e95
	v_add_f64 v[44:45], v[172:173], v[240:241]
	v_add_f64 v[48:49], v[174:175], v[242:243]
	v_add_f64 v[246:247], v[238:239], -v[186:187]
	s_mov_b32 s2, 0x370991
	s_mov_b32 s28, 0x2a9d6da3
	;; [unrolled: 1-line block ×4, first 2 shown]
	v_add_f64 v[244:245], v[236:237], v[184:185]
	v_add_f64 v[50:51], v[240:241], -v[172:173]
	v_add_f64 v[250:251], v[238:239], v[186:187]
	v_add_f64 v[0:1], v[234:235], -v[194:195]
	s_mov_b32 s10, 0x75d4884
	s_mov_b32 s34, 0x7c9e640b
	;; [unrolled: 1-line block ×4, first 2 shown]
	v_add_f64 v[6:7], v[236:237], -v[184:185]
	v_add_f64 v[2:3], v[192:193], v[232:233]
	v_add_f64 v[8:9], v[194:195], v[234:235]
	s_mov_b32 s18, 0xeb564b22
	v_mul_f64 v[84:85], v[46:47], s[8:9]
	s_mov_b32 s19, 0xbfefdd0d
	v_add_f64 v[14:15], v[232:233], -v[192:193]
	v_add_f64 v[254:255], v[188:189], v[228:229]
	v_mul_f64 v[99:100], v[48:49], s[2:3]
	v_mul_f64 v[56:57], v[246:247], s[28:29]
	v_add_f64 v[24:25], v[190:191], v[230:231]
	s_mov_b32 s20, 0x3259b75e
	s_mov_b32 s21, 0x3fb79ee6
	v_add_f64 v[32:33], v[228:229], -v[188:189]
	s_mov_b32 s38, 0x923c349f
	s_mov_b32 s39, 0xbfeec746
	v_mul_f64 v[64:65], v[250:251], s[10:11]
	v_mul_f64 v[60:61], v[0:1], s[34:35]
	v_add_f64 v[38:39], v[214:215], v[198:199]
	s_mov_b32 s30, 0xc61f0d01
	s_mov_b32 s31, 0xbfd183b1
	v_add_f64 v[40:41], v[212:213], -v[196:197]
	v_add_f64 v[30:31], v[222:223], -v[202:203]
	s_mov_b32 s24, 0x6c9a05f6
	v_mul_f64 v[78:79], v[8:9], s[16:17]
	s_mov_b32 s25, 0xbfe9895b
	v_fma_f64 v[4:5], v[44:45], s[2:3], -v[84:85]
	v_add_f64 v[34:35], v[202:203], v[222:223]
	s_mov_b32 s22, 0x6ed5f1bb
	s_mov_b32 s23, 0xbfe348c8
	v_fma_f64 v[10:11], v[50:51], s[8:9], v[99:100]
	v_fma_f64 v[12:13], v[244:245], s[10:11], -v[56:57]
	v_mul_f64 v[72:73], v[24:25], s[20:21]
	v_add_f64 v[42:43], v[220:221], -v[200:201]
	v_add_f64 v[28:29], v[210:211], -v[206:207]
	s_mov_b32 s36, 0x4363dd80
	s_mov_b32 s37, 0xbfe0d888
	;; [unrolled: 1-line block ×3, first 2 shown]
	v_fma_f64 v[18:19], v[6:7], s[28:29], v[64:65]
	v_fma_f64 v[20:21], v[2:3], s[16:17], -v[60:61]
	v_mul_f64 v[80:81], v[38:39], s[30:31]
	s_mov_b32 s27, 0xbfeb34fa
	v_add_f64 v[36:37], v[208:209], -v[204:205]
	s_mov_b32 s42, 0xacd6c6b4
	v_mul_f64 v[76:77], v[30:31], s[24:25]
	s_mov_b32 s43, 0xbfc7851a
	v_add_f64 v[248:249], v[224:225], v[216:217]
	s_mov_b32 s40, 0x7faef3
	v_add_f64 v[16:17], v[180:181], v[4:5]
	v_add_f64 v[4:5], v[230:231], -v[190:191]
	v_mul_f64 v[82:83], v[34:35], s[22:23]
	s_mov_b32 s41, 0xbfef7484
	v_add_f64 v[10:11], v[182:183], v[10:11]
	v_add_f64 v[252:253], v[226:227], v[218:219]
	s_barrier
	v_mul_f64 v[66:67], v[28:29], s[36:37]
	buffer_gl0_inv
	v_add_f64 v[12:13], v[12:13], v[16:17]
	v_mul_f64 v[70:71], v[4:5], s[18:19]
	v_fma_f64 v[16:17], v[14:15], s[34:35], v[78:79]
	v_add_f64 v[10:11], v[18:19], v[10:11]
	v_mul_f64 v[62:63], v[252:253], s[40:41]
	v_add_f64 v[12:13], v[20:21], v[12:13]
	v_fma_f64 v[18:19], v[254:255], s[20:21], -v[70:71]
	v_add_f64 v[10:11], v[16:17], v[10:11]
	v_fma_f64 v[16:17], v[32:33], s[18:19], v[72:73]
	v_add_f64 v[12:13], v[18:19], v[12:13]
	v_add_f64 v[18:19], v[214:215], -v[198:199]
	v_add_f64 v[10:11], v[16:17], v[10:11]
	v_add_f64 v[16:17], v[212:213], v[196:197]
	v_mul_f64 v[68:69], v[18:19], s[38:39]
	v_fma_f64 v[20:21], v[16:17], s[30:31], -v[68:69]
	v_add_f64 v[12:13], v[20:21], v[12:13]
	v_fma_f64 v[20:21], v[40:41], s[38:39], v[80:81]
	v_add_f64 v[10:11], v[20:21], v[10:11]
	v_add_f64 v[20:21], v[200:201], v[220:221]
	v_fma_f64 v[22:23], v[20:21], s[22:23], -v[76:77]
	v_add_f64 v[12:13], v[22:23], v[12:13]
	v_fma_f64 v[22:23], v[42:43], s[24:25], v[82:83]
	v_add_f64 v[22:23], v[22:23], v[10:11]
	v_add_f64 v[10:11], v[208:209], v[204:205]
	v_fma_f64 v[26:27], v[10:11], s[26:27], -v[66:67]
	v_add_f64 v[52:53], v[26:27], v[12:13]
	v_add_f64 v[26:27], v[210:211], v[206:207]
	v_mul_f64 v[74:75], v[26:27], s[26:27]
	v_fma_f64 v[12:13], v[36:37], s[36:37], v[74:75]
	v_add_f64 v[54:55], v[12:13], v[22:23]
	v_add_f64 v[12:13], v[226:227], -v[218:219]
	v_mul_f64 v[58:59], v[12:13], s[42:43]
	v_fma_f64 v[22:23], v[248:249], s[40:41], -v[58:59]
	v_add_f64 v[176:177], v[22:23], v[52:53]
	v_add_f64 v[22:23], v[224:225], -v[216:217]
	v_fma_f64 v[52:53], v[22:23], s[42:43], v[62:63]
	v_add_f64 v[178:179], v[52:53], v[54:55]
	s_and_saveexec_b32 s1, vcc_lo
	s_cbranch_execz .LBB0_17
; %bb.16:
	v_add_f64 v[54:55], v[180:181], v[240:241]
	v_add_f64 v[52:53], v[182:183], v[242:243]
	s_mov_b32 s45, 0x3fd71e95
	s_mov_b32 s44, s8
	v_mov_b32_e32 v103, v59
	v_mov_b32_e32 v102, v58
	s_mov_b32 s47, 0x3fe58eea
	s_mov_b32 s46, s28
	v_mov_b32_e32 v241, v81
	v_mov_b32_e32 v240, v80
	;; [unrolled: 4-line block ×3, first 2 shown]
	s_mov_b32 s53, 0x3fefdd0d
	s_mov_b32 s52, s18
	;; [unrolled: 1-line block ×6, first 2 shown]
	v_mul_f64 v[95:96], v[36:37], s[42:43]
	v_mul_f64 v[97:98], v[28:29], s[42:43]
	v_add_f64 v[54:55], v[236:237], v[54:55]
	v_add_f64 v[52:53], v[238:239], v[52:53]
	v_mov_b32_e32 v239, v79
	v_mov_b32_e32 v238, v78
	s_mov_b32 s57, 0x3fe0d888
	s_mov_b32 s56, s36
	v_add_f64 v[54:55], v[232:233], v[54:55]
	v_add_f64 v[52:53], v[234:235], v[52:53]
	v_mov_b32_e32 v233, v73
	v_mov_b32_e32 v232, v72
	v_add_f64 v[54:55], v[228:229], v[54:55]
	v_add_f64 v[52:53], v[230:231], v[52:53]
	v_mov_b32_e32 v229, v69
	v_mov_b32_e32 v228, v68
	;; [unrolled: 1-line block ×4, first 2 shown]
	v_add_f64 v[54:55], v[212:213], v[54:55]
	v_add_f64 v[52:53], v[214:215], v[52:53]
	;; [unrolled: 1-line block ×3, first 2 shown]
	v_mov_b32_e32 v221, v61
	v_mov_b32_e32 v220, v60
	v_mul_f64 v[60:61], v[6:7], s[44:45]
	v_add_f64 v[52:53], v[222:223], v[52:53]
	v_mov_b32_e32 v223, v63
	v_mov_b32_e32 v222, v62
	v_add_f64 v[54:55], v[208:209], v[54:55]
	v_mov_b32_e32 v209, v85
	v_mov_b32_e32 v208, v84
	v_fma_f64 v[62:63], v[250:251], s[2:3], v[60:61]
	v_add_f64 v[52:53], v[210:211], v[52:53]
	v_mov_b32_e32 v211, v75
	v_mov_b32_e32 v210, v74
	v_fma_f64 v[60:61], v[250:251], s[2:3], -v[60:61]
	v_add_f64 v[54:55], v[224:225], v[54:55]
	v_mov_b32_e32 v225, v65
	v_mov_b32_e32 v224, v64
	v_add_f64 v[52:53], v[226:227], v[52:53]
	v_mov_b32_e32 v227, v67
	v_mov_b32_e32 v226, v66
	v_mul_f64 v[66:67], v[246:247], s[44:45]
	v_add_f64 v[54:55], v[216:217], v[54:55]
	v_mov_b32_e32 v217, v57
	v_mov_b32_e32 v216, v56
	v_mul_f64 v[56:57], v[50:51], s[42:43]
	v_add_f64 v[52:53], v[218:219], v[52:53]
	v_mov_b32_e32 v219, v77
	v_mov_b32_e32 v218, v76
	v_fma_f64 v[68:69], v[244:245], s[2:3], -v[66:67]
	v_add_f64 v[54:55], v[204:205], v[54:55]
	v_fma_f64 v[58:59], v[48:49], s[40:41], v[56:57]
	v_fma_f64 v[56:57], v[48:49], s[40:41], -v[56:57]
	v_add_f64 v[52:53], v[206:207], v[52:53]
	v_add_f64 v[54:55], v[200:201], v[54:55]
	;; [unrolled: 1-line block ×6, first 2 shown]
	v_mul_f64 v[196:197], v[22:23], s[48:49]
	v_add_f64 v[58:59], v[62:63], v[58:59]
	v_mul_f64 v[62:63], v[46:47], s[42:43]
	v_add_f64 v[56:57], v[60:61], v[56:57]
	v_add_f64 v[52:53], v[198:199], v[52:53]
	;; [unrolled: 1-line block ×3, first 2 shown]
	v_fma_f64 v[64:65], v[44:45], s[40:41], -v[62:63]
	v_fma_f64 v[60:61], v[44:45], s[40:41], v[62:63]
	v_fma_f64 v[62:63], v[244:245], s[2:3], v[66:67]
	v_mul_f64 v[66:67], v[246:247], s[48:49]
	v_add_f64 v[64:65], v[180:181], v[64:65]
	v_add_f64 v[60:61], v[180:181], v[60:61]
	;; [unrolled: 1-line block ×3, first 2 shown]
	v_mul_f64 v[68:69], v[14:15], s[36:37]
	v_add_f64 v[60:61], v[62:63], v[60:61]
	v_fma_f64 v[70:71], v[8:9], s[26:27], v[68:69]
	v_fma_f64 v[62:63], v[8:9], s[26:27], -v[68:69]
	v_fma_f64 v[68:69], v[244:245], s[16:17], -v[66:67]
	v_add_f64 v[58:59], v[70:71], v[58:59]
	v_mul_f64 v[70:71], v[0:1], s[36:37]
	v_add_f64 v[56:57], v[62:63], v[56:57]
	v_fma_f64 v[72:73], v[2:3], s[26:27], -v[70:71]
	v_fma_f64 v[62:63], v[2:3], s[26:27], v[70:71]
	v_add_f64 v[64:65], v[72:73], v[64:65]
	v_mul_f64 v[72:73], v[32:33], s[46:47]
	v_add_f64 v[60:61], v[62:63], v[60:61]
	v_fma_f64 v[74:75], v[24:25], s[10:11], v[72:73]
	v_fma_f64 v[62:63], v[24:25], s[10:11], -v[72:73]
	v_add_f64 v[58:59], v[74:75], v[58:59]
	v_mul_f64 v[74:75], v[4:5], s[46:47]
	v_add_f64 v[56:57], v[62:63], v[56:57]
	v_fma_f64 v[76:77], v[254:255], s[10:11], -v[74:75]
	v_fma_f64 v[62:63], v[254:255], s[10:11], v[74:75]
	v_add_f64 v[64:65], v[76:77], v[64:65]
	v_mul_f64 v[76:77], v[40:41], s[24:25]
	v_add_f64 v[60:61], v[62:63], v[60:61]
	v_fma_f64 v[78:79], v[38:39], s[22:23], v[76:77]
	;; [unrolled: 10-line block ×5, first 2 shown]
	v_fma_f64 v[62:63], v[252:253], s[20:21], -v[88:89]
	v_add_f64 v[236:237], v[90:91], v[58:59]
	v_mul_f64 v[58:59], v[12:13], s[52:53]
	v_add_f64 v[214:215], v[62:63], v[56:57]
	v_mul_f64 v[56:57], v[50:51], s[36:37]
	v_fma_f64 v[90:91], v[248:249], s[20:21], -v[58:59]
	v_fma_f64 v[58:59], v[248:249], s[20:21], v[58:59]
	v_add_f64 v[234:235], v[90:91], v[64:65]
	v_add_f64 v[212:213], v[58:59], v[60:61]
	v_fma_f64 v[58:59], v[48:49], s[26:27], v[56:57]
	v_mul_f64 v[60:61], v[6:7], s[48:49]
	v_fma_f64 v[56:57], v[48:49], s[26:27], -v[56:57]
	v_add_f64 v[58:59], v[182:183], v[58:59]
	v_fma_f64 v[62:63], v[250:251], s[16:17], v[60:61]
	v_fma_f64 v[60:61], v[250:251], s[16:17], -v[60:61]
	v_add_f64 v[56:57], v[182:183], v[56:57]
	v_add_f64 v[58:59], v[62:63], v[58:59]
	v_mul_f64 v[62:63], v[46:47], s[36:37]
	v_add_f64 v[56:57], v[60:61], v[56:57]
	v_fma_f64 v[64:65], v[44:45], s[26:27], -v[62:63]
	v_fma_f64 v[60:61], v[44:45], s[26:27], v[62:63]
	v_fma_f64 v[62:63], v[244:245], s[16:17], v[66:67]
	v_mul_f64 v[66:67], v[246:247], s[54:55]
	v_add_f64 v[64:65], v[180:181], v[64:65]
	v_add_f64 v[60:61], v[180:181], v[60:61]
	;; [unrolled: 1-line block ×3, first 2 shown]
	v_mul_f64 v[68:69], v[14:15], s[18:19]
	v_add_f64 v[60:61], v[62:63], v[60:61]
	v_fma_f64 v[70:71], v[8:9], s[20:21], v[68:69]
	v_fma_f64 v[62:63], v[8:9], s[20:21], -v[68:69]
	v_add_f64 v[58:59], v[70:71], v[58:59]
	v_mul_f64 v[70:71], v[0:1], s[18:19]
	v_add_f64 v[56:57], v[62:63], v[56:57]
	v_fma_f64 v[72:73], v[2:3], s[20:21], -v[70:71]
	v_fma_f64 v[62:63], v[2:3], s[20:21], v[70:71]
	v_add_f64 v[64:65], v[72:73], v[64:65]
	v_mul_f64 v[72:73], v[32:33], s[50:51]
	v_add_f64 v[60:61], v[62:63], v[60:61]
	v_fma_f64 v[74:75], v[24:25], s[22:23], v[72:73]
	v_fma_f64 v[62:63], v[24:25], s[22:23], -v[72:73]
	v_fma_f64 v[72:73], v[244:245], s[30:31], -v[66:67]
	v_add_f64 v[58:59], v[74:75], v[58:59]
	v_mul_f64 v[74:75], v[4:5], s[50:51]
	v_add_f64 v[56:57], v[62:63], v[56:57]
	v_fma_f64 v[76:77], v[254:255], s[22:23], -v[74:75]
	v_fma_f64 v[62:63], v[254:255], s[22:23], v[74:75]
	v_add_f64 v[64:65], v[76:77], v[64:65]
	v_mul_f64 v[76:77], v[40:41], s[8:9]
	v_add_f64 v[60:61], v[62:63], v[60:61]
	v_fma_f64 v[78:79], v[38:39], s[2:3], v[76:77]
	v_fma_f64 v[62:63], v[38:39], s[2:3], -v[76:77]
	v_mul_f64 v[76:77], v[14:15], s[8:9]
	v_add_f64 v[58:59], v[78:79], v[58:59]
	v_mul_f64 v[78:79], v[18:19], s[8:9]
	v_add_f64 v[56:57], v[62:63], v[56:57]
	v_fma_f64 v[80:81], v[16:17], s[2:3], -v[78:79]
	v_fma_f64 v[62:63], v[16:17], s[2:3], v[78:79]
	v_mul_f64 v[78:79], v[0:1], s[8:9]
	v_add_f64 v[64:65], v[80:81], v[64:65]
	v_mul_f64 v[80:81], v[42:43], s[42:43]
	v_add_f64 v[60:61], v[62:63], v[60:61]
	v_fma_f64 v[82:83], v[34:35], s[40:41], v[80:81]
	v_fma_f64 v[62:63], v[34:35], s[40:41], -v[80:81]
	v_mul_f64 v[80:81], v[32:33], s[36:37]
	v_add_f64 v[58:59], v[82:83], v[58:59]
	v_mul_f64 v[82:83], v[30:31], s[42:43]
	v_add_f64 v[56:57], v[62:63], v[56:57]
	v_fma_f64 v[84:85], v[20:21], s[40:41], -v[82:83]
	v_fma_f64 v[62:63], v[20:21], s[40:41], v[82:83]
	v_mul_f64 v[82:83], v[4:5], s[36:37]
	;; [unrolled: 12-line block ×3, first 2 shown]
	v_add_f64 v[64:65], v[88:89], v[64:65]
	v_mul_f64 v[88:89], v[22:23], s[38:39]
	v_add_f64 v[60:61], v[62:63], v[60:61]
	v_fma_f64 v[90:91], v[252:253], s[30:31], v[88:89]
	v_fma_f64 v[62:63], v[252:253], s[30:31], -v[88:89]
	v_mul_f64 v[88:89], v[42:43], s[28:29]
	v_add_f64 v[114:115], v[90:91], v[58:59]
	v_mul_f64 v[58:59], v[12:13], s[38:39]
	v_add_f64 v[70:71], v[62:63], v[56:57]
	v_mul_f64 v[56:57], v[50:51], s[24:25]
	v_fma_f64 v[90:91], v[248:249], s[30:31], -v[58:59]
	v_fma_f64 v[58:59], v[248:249], s[30:31], v[58:59]
	v_add_f64 v[112:113], v[90:91], v[64:65]
	v_add_f64 v[68:69], v[58:59], v[60:61]
	v_fma_f64 v[58:59], v[48:49], s[22:23], v[56:57]
	v_mul_f64 v[60:61], v[6:7], s[54:55]
	v_mul_f64 v[90:91], v[30:31], s[28:29]
	v_add_f64 v[58:59], v[182:183], v[58:59]
	v_fma_f64 v[62:63], v[250:251], s[30:31], v[60:61]
	v_fma_f64 v[54:55], v[250:251], s[30:31], -v[60:61]
	v_mul_f64 v[60:61], v[50:51], s[38:39]
	v_add_f64 v[58:59], v[62:63], v[58:59]
	v_mul_f64 v[62:63], v[46:47], s[24:25]
	v_fma_f64 v[64:65], v[44:45], s[22:23], -v[62:63]
	v_add_f64 v[64:65], v[180:181], v[64:65]
	v_add_f64 v[64:65], v[72:73], v[64:65]
	v_fma_f64 v[72:73], v[8:9], s[2:3], v[76:77]
	v_add_f64 v[58:59], v[72:73], v[58:59]
	v_fma_f64 v[72:73], v[2:3], s[2:3], -v[78:79]
	v_add_f64 v[64:65], v[72:73], v[64:65]
	v_fma_f64 v[72:73], v[24:25], s[26:27], v[80:81]
	v_add_f64 v[58:59], v[72:73], v[58:59]
	v_fma_f64 v[72:73], v[254:255], s[26:27], -v[82:83]
	;; [unrolled: 4-line block ×5, first 2 shown]
	v_add_f64 v[64:65], v[72:73], v[64:65]
	v_fma_f64 v[72:73], v[252:253], s[16:17], v[196:197]
	v_add_f64 v[74:75], v[72:73], v[58:59]
	v_mul_f64 v[58:59], v[12:13], s[48:49]
	v_fma_f64 v[72:73], v[248:249], s[16:17], -v[58:59]
	v_fma_f64 v[58:59], v[248:249], s[16:17], v[58:59]
	v_add_f64 v[72:73], v[72:73], v[64:65]
	v_add_f64 v[64:65], v[190:191], v[52:53]
	v_fma_f64 v[52:53], v[48:49], s[22:23], -v[56:57]
	v_fma_f64 v[56:57], v[244:245], s[30:31], v[66:67]
	v_add_f64 v[52:53], v[182:183], v[52:53]
	v_add_f64 v[52:53], v[54:55], v[52:53]
	v_fma_f64 v[54:55], v[44:45], s[22:23], v[62:63]
	v_fma_f64 v[62:63], v[48:49], s[30:31], v[60:61]
	v_fma_f64 v[60:61], v[48:49], s[30:31], -v[60:61]
	v_add_f64 v[54:55], v[180:181], v[54:55]
	v_add_f64 v[62:63], v[182:183], v[62:63]
	v_add_f64 v[60:61], v[182:183], v[60:61]
	v_add_f64 v[54:55], v[56:57], v[54:55]
	v_fma_f64 v[56:57], v[8:9], s[2:3], -v[76:77]
	v_mul_f64 v[76:77], v[50:51], s[34:35]
	v_add_f64 v[52:53], v[56:57], v[52:53]
	v_fma_f64 v[56:57], v[2:3], s[2:3], v[78:79]
	v_fma_f64 v[78:79], v[48:49], s[16:17], v[76:77]
	v_fma_f64 v[76:77], v[48:49], s[16:17], -v[76:77]
	v_add_f64 v[54:55], v[56:57], v[54:55]
	v_fma_f64 v[56:57], v[24:25], s[26:27], -v[80:81]
	v_mul_f64 v[80:81], v[50:51], s[28:29]
	v_add_f64 v[78:79], v[182:183], v[78:79]
	v_add_f64 v[76:77], v[182:183], v[76:77]
	;; [unrolled: 1-line block ×3, first 2 shown]
	v_fma_f64 v[56:57], v[254:255], s[26:27], v[82:83]
	v_fma_f64 v[82:83], v[48:49], s[10:11], v[80:81]
	v_add_f64 v[54:55], v[56:57], v[54:55]
	v_fma_f64 v[56:57], v[38:39], s[20:21], -v[84:85]
	v_mul_f64 v[84:85], v[46:47], s[18:19]
	v_add_f64 v[82:83], v[182:183], v[82:83]
	v_add_f64 v[52:53], v[56:57], v[52:53]
	v_fma_f64 v[56:57], v[16:17], s[20:21], v[86:87]
	v_mul_f64 v[86:87], v[46:47], s[34:35]
	v_add_f64 v[54:55], v[56:57], v[54:55]
	v_fma_f64 v[56:57], v[34:35], s[10:11], -v[88:89]
	v_add_f64 v[52:53], v[56:57], v[52:53]
	v_fma_f64 v[56:57], v[20:21], s[10:11], v[90:91]
	v_fma_f64 v[90:91], v[44:45], s[20:21], -v[84:85]
	v_fma_f64 v[84:85], v[44:45], s[20:21], v[84:85]
	v_add_f64 v[54:55], v[56:57], v[54:55]
	v_fma_f64 v[56:57], v[26:27], s[40:41], -v[95:96]
	v_fma_f64 v[95:96], v[44:45], s[16:17], -v[86:87]
	v_fma_f64 v[86:87], v[44:45], s[16:17], v[86:87]
	v_add_f64 v[90:91], v[180:181], v[90:91]
	v_add_f64 v[84:85], v[180:181], v[84:85]
	;; [unrolled: 1-line block ×3, first 2 shown]
	v_fma_f64 v[56:57], v[10:11], s[40:41], v[97:98]
	v_add_f64 v[95:96], v[180:181], v[95:96]
	v_add_f64 v[86:87], v[180:181], v[86:87]
	;; [unrolled: 1-line block ×3, first 2 shown]
	v_fma_f64 v[54:55], v[252:253], s[16:17], -v[196:197]
	v_mul_f64 v[196:197], v[246:247], s[18:19]
	v_add_f64 v[54:55], v[54:55], v[52:53]
	v_add_f64 v[52:53], v[58:59], v[56:57]
	;; [unrolled: 1-line block ×3, first 2 shown]
	v_mul_f64 v[64:65], v[50:51], s[18:19]
	v_mul_f64 v[50:51], v[50:51], s[8:9]
	v_add_f64 v[58:59], v[192:193], v[188:189]
	v_fma_f64 v[200:201], v[244:245], s[20:21], v[196:197]
	v_fma_f64 v[196:197], v[244:245], s[20:21], -v[196:197]
	v_add_f64 v[56:57], v[186:187], v[56:57]
	v_fma_f64 v[66:67], v[48:49], s[20:21], -v[64:65]
	v_fma_f64 v[64:65], v[48:49], s[20:21], v[64:65]
	v_fma_f64 v[48:49], v[48:49], s[10:11], -v[80:81]
	v_mul_f64 v[80:81], v[46:47], s[38:39]
	v_mul_f64 v[46:47], v[46:47], s[28:29]
	v_add_f64 v[50:51], v[99:100], -v[50:51]
	v_add_f64 v[58:59], v[184:185], v[58:59]
	v_add_f64 v[66:67], v[182:183], v[66:67]
	;; [unrolled: 1-line block ×4, first 2 shown]
	v_fma_f64 v[88:89], v[44:45], s[30:31], -v[80:81]
	v_fma_f64 v[80:81], v[44:45], s[30:31], v[80:81]
	v_fma_f64 v[97:98], v[44:45], s[10:11], -v[46:47]
	v_fma_f64 v[46:47], v[44:45], s[10:11], v[46:47]
	v_mul_f64 v[44:45], v[44:45], s[2:3]
	v_add_f64 v[50:51], v[182:183], v[50:51]
	v_add_f64 v[88:89], v[180:181], v[88:89]
	;; [unrolled: 1-line block ×8, first 2 shown]
	v_mul_f64 v[180:181], v[6:7], s[56:57]
	v_fma_f64 v[182:183], v[250:251], s[26:27], v[180:181]
	v_fma_f64 v[180:181], v[250:251], s[26:27], -v[180:181]
	v_add_f64 v[62:63], v[182:183], v[62:63]
	v_mul_f64 v[182:183], v[14:15], s[46:47]
	v_add_f64 v[60:61], v[180:181], v[60:61]
	v_mul_f64 v[180:181], v[40:41], s[42:43]
	v_fma_f64 v[184:185], v[8:9], s[10:11], v[182:183]
	v_fma_f64 v[182:183], v[8:9], s[10:11], -v[182:183]
	v_add_f64 v[62:63], v[184:185], v[62:63]
	v_mul_f64 v[184:185], v[32:33], s[34:35]
	v_add_f64 v[60:61], v[182:183], v[60:61]
	;; [unrolled: 6-line block ×3, first 2 shown]
	v_mul_f64 v[184:185], v[246:247], s[42:43]
	v_fma_f64 v[188:189], v[244:245], s[26:27], -v[186:187]
	v_fma_f64 v[186:187], v[244:245], s[26:27], v[186:187]
	v_add_f64 v[88:89], v[188:189], v[88:89]
	v_fma_f64 v[188:189], v[38:39], s[40:41], v[180:181]
	v_add_f64 v[80:81], v[186:187], v[80:81]
	v_fma_f64 v[186:187], v[34:35], s[20:21], v[182:183]
	v_fma_f64 v[180:181], v[38:39], s[40:41], -v[180:181]
	v_add_f64 v[62:63], v[188:189], v[62:63]
	v_mul_f64 v[188:189], v[0:1], s[46:47]
	v_add_f64 v[60:61], v[180:181], v[60:61]
	v_mul_f64 v[180:181], v[0:1], s[54:55]
	v_add_f64 v[62:63], v[186:187], v[62:63]
	v_fma_f64 v[190:191], v[2:3], s[10:11], -v[188:189]
	v_mul_f64 v[186:187], v[6:7], s[42:43]
	v_fma_f64 v[188:189], v[2:3], s[10:11], v[188:189]
	v_add_f64 v[88:89], v[190:191], v[88:89]
	v_fma_f64 v[190:191], v[250:251], s[40:41], -v[186:187]
	v_fma_f64 v[186:187], v[250:251], s[40:41], v[186:187]
	v_add_f64 v[80:81], v[188:189], v[80:81]
	v_add_f64 v[66:67], v[190:191], v[66:67]
	;; [unrolled: 1-line block ×3, first 2 shown]
	v_fma_f64 v[186:187], v[244:245], s[40:41], -v[184:185]
	v_mul_f64 v[190:191], v[4:5], s[34:35]
	v_fma_f64 v[184:185], v[244:245], s[40:41], v[184:185]
	v_add_f64 v[90:91], v[186:187], v[90:91]
	v_mul_f64 v[186:187], v[36:37], s[8:9]
	v_fma_f64 v[192:193], v[254:255], s[16:17], -v[190:191]
	v_add_f64 v[84:85], v[184:185], v[84:85]
	v_mul_f64 v[184:185], v[32:33], s[44:45]
	v_fma_f64 v[190:191], v[254:255], s[16:17], v[190:191]
	v_fma_f64 v[188:189], v[26:27], s[2:3], v[186:187]
	v_add_f64 v[88:89], v[192:193], v[88:89]
	v_fma_f64 v[186:187], v[26:27], s[2:3], -v[186:187]
	v_add_f64 v[80:81], v[190:191], v[80:81]
	v_add_f64 v[62:63], v[188:189], v[62:63]
	v_mul_f64 v[188:189], v[14:15], s[54:55]
	v_fma_f64 v[192:193], v[8:9], s[30:31], -v[188:189]
	v_fma_f64 v[188:189], v[8:9], s[30:31], v[188:189]
	v_add_f64 v[66:67], v[192:193], v[66:67]
	v_add_f64 v[64:65], v[188:189], v[64:65]
	v_fma_f64 v[188:189], v[2:3], s[30:31], -v[180:181]
	v_mul_f64 v[192:193], v[18:19], s[42:43]
	v_fma_f64 v[180:181], v[2:3], s[30:31], v[180:181]
	v_add_f64 v[90:91], v[188:189], v[90:91]
	v_fma_f64 v[188:189], v[24:25], s[2:3], -v[184:185]
	v_fma_f64 v[184:185], v[24:25], s[2:3], v[184:185]
	v_fma_f64 v[194:195], v[16:17], s[40:41], -v[192:193]
	v_add_f64 v[84:85], v[180:181], v[84:85]
	v_fma_f64 v[180:181], v[34:35], s[20:21], -v[182:183]
	v_add_f64 v[66:67], v[188:189], v[66:67]
	v_fma_f64 v[188:189], v[16:17], s[40:41], v[192:193]
	v_add_f64 v[64:65], v[184:185], v[64:65]
	v_mul_f64 v[184:185], v[30:31], s[52:53]
	v_add_f64 v[88:89], v[194:195], v[88:89]
	v_add_f64 v[60:61], v[180:181], v[60:61]
	v_mul_f64 v[180:181], v[40:41], s[34:35]
	s_mov_b32 s53, 0x3fc7851a
	s_mov_b32 s52, s42
	v_mul_f64 v[194:195], v[246:247], s[24:25]
	v_add_f64 v[80:81], v[188:189], v[80:81]
	v_fma_f64 v[188:189], v[20:21], s[20:21], -v[184:185]
	v_fma_f64 v[184:185], v[20:21], s[20:21], v[184:185]
	v_add_f64 v[60:61], v[186:187], v[60:61]
	v_fma_f64 v[182:183], v[38:39], s[16:17], -v[180:181]
	v_fma_f64 v[180:181], v[38:39], s[16:17], v[180:181]
	v_fma_f64 v[198:199], v[244:245], s[22:23], v[194:195]
	v_fma_f64 v[194:195], v[244:245], s[22:23], -v[194:195]
	v_add_f64 v[88:89], v[188:189], v[88:89]
	v_mul_f64 v[188:189], v[4:5], s[44:45]
	v_add_f64 v[80:81], v[184:185], v[80:81]
	v_add_f64 v[66:67], v[182:183], v[66:67]
	;; [unrolled: 1-line block ×3, first 2 shown]
	v_mul_f64 v[180:181], v[18:19], s[34:35]
	v_mul_f64 v[182:183], v[6:7], s[24:25]
	v_add_f64 v[86:87], v[198:199], v[86:87]
	v_add_f64 v[95:96], v[194:195], v[95:96]
	v_fma_f64 v[190:191], v[254:255], s[2:3], -v[188:189]
	v_fma_f64 v[184:185], v[16:17], s[16:17], -v[180:181]
	v_fma_f64 v[180:181], v[16:17], s[16:17], v[180:181]
	v_add_f64 v[90:91], v[190:191], v[90:91]
	v_fma_f64 v[190:191], v[250:251], s[22:23], v[182:183]
	v_fma_f64 v[182:183], v[250:251], s[22:23], -v[182:183]
	v_add_f64 v[90:91], v[184:185], v[90:91]
	v_fma_f64 v[184:185], v[254:255], s[2:3], v[188:189]
	v_add_f64 v[78:79], v[190:191], v[78:79]
	v_add_f64 v[76:77], v[182:183], v[76:77]
	;; [unrolled: 1-line block ×3, first 2 shown]
	v_mul_f64 v[184:185], v[28:29], s[8:9]
	v_add_f64 v[84:85], v[180:181], v[84:85]
	v_fma_f64 v[188:189], v[10:11], s[2:3], -v[184:185]
	v_fma_f64 v[184:185], v[10:11], s[2:3], v[184:185]
	v_mul_f64 v[180:181], v[36:37], s[50:51]
	v_add_f64 v[88:89], v[188:189], v[88:89]
	v_mul_f64 v[188:189], v[42:43], s[36:37]
	v_add_f64 v[80:81], v[184:185], v[80:81]
	v_fma_f64 v[184:185], v[34:35], s[26:27], v[188:189]
	v_fma_f64 v[190:191], v[34:35], s[26:27], -v[188:189]
	v_add_f64 v[64:65], v[184:185], v[64:65]
	v_mul_f64 v[184:185], v[30:31], s[36:37]
	v_add_f64 v[66:67], v[190:191], v[66:67]
	v_mul_f64 v[190:191], v[14:15], s[52:53]
	v_fma_f64 v[186:187], v[20:21], s[26:27], -v[184:185]
	v_fma_f64 v[184:185], v[20:21], s[26:27], v[184:185]
	v_fma_f64 v[192:193], v[8:9], s[40:41], v[190:191]
	v_fma_f64 v[190:191], v[8:9], s[40:41], -v[190:191]
	v_add_f64 v[90:91], v[186:187], v[90:91]
	v_fma_f64 v[186:187], v[26:27], s[22:23], -v[180:181]
	v_add_f64 v[78:79], v[192:193], v[78:79]
	v_add_f64 v[84:85], v[184:185], v[84:85]
	v_mul_f64 v[184:185], v[40:41], s[46:47]
	v_mul_f64 v[192:193], v[244:245], s[10:11]
	v_add_f64 v[76:77], v[190:191], v[76:77]
	v_add_f64 v[66:67], v[186:187], v[66:67]
	v_mul_f64 v[186:187], v[32:33], s[54:55]
	v_add_f64 v[192:193], v[192:193], v[216:217]
	v_fma_f64 v[188:189], v[24:25], s[30:31], v[186:187]
	v_add_f64 v[44:45], v[192:193], v[44:45]
	v_add_f64 v[78:79], v[188:189], v[78:79]
	v_fma_f64 v[188:189], v[38:39], s[10:11], v[184:185]
	v_add_f64 v[78:79], v[188:189], v[78:79]
	v_mul_f64 v[188:189], v[6:7], s[28:29]
	v_mul_f64 v[6:7], v[6:7], s[18:19]
	v_add_f64 v[188:189], v[224:225], -v[188:189]
	v_fma_f64 v[182:183], v[250:251], s[20:21], -v[6:7]
	v_fma_f64 v[6:7], v[250:251], s[20:21], v[6:7]
	v_add_f64 v[50:51], v[188:189], v[50:51]
	v_add_f64 v[48:49], v[182:183], v[48:49]
	v_mul_f64 v[182:183], v[14:15], s[34:35]
	v_mul_f64 v[14:15], v[14:15], s[24:25]
	v_add_f64 v[6:7], v[6:7], v[82:83]
	v_mul_f64 v[188:189], v[2:3], s[16:17]
	v_add_f64 v[182:183], v[238:239], -v[182:183]
	v_fma_f64 v[190:191], v[8:9], s[22:23], -v[14:15]
	v_fma_f64 v[8:9], v[8:9], s[22:23], v[14:15]
	v_mul_f64 v[14:15], v[0:1], s[52:53]
	v_mul_f64 v[0:1], v[0:1], s[24:25]
	v_add_f64 v[188:189], v[188:189], v[220:221]
	v_add_f64 v[50:51], v[182:183], v[50:51]
	;; [unrolled: 1-line block ×4, first 2 shown]
	v_fma_f64 v[82:83], v[2:3], s[40:41], v[14:15]
	v_fma_f64 v[14:15], v[2:3], s[40:41], -v[14:15]
	v_fma_f64 v[192:193], v[2:3], s[22:23], v[0:1]
	v_fma_f64 v[0:1], v[2:3], s[22:23], -v[0:1]
	v_add_f64 v[2:3], v[196:197], v[97:98]
	v_mul_f64 v[97:98], v[32:33], s[18:19]
	v_mul_f64 v[32:33], v[32:33], s[42:43]
	;; [unrolled: 1-line block ×5, first 2 shown]
	v_add_f64 v[44:45], v[188:189], v[44:45]
	v_add_f64 v[82:83], v[82:83], v[86:87]
	v_fma_f64 v[86:87], v[24:25], s[30:31], -v[186:187]
	v_add_f64 v[14:15], v[14:15], v[95:96]
	v_add_f64 v[46:47], v[192:193], v[46:47]
	;; [unrolled: 1-line block ×3, first 2 shown]
	v_add_f64 v[97:98], v[232:233], -v[97:98]
	v_fma_f64 v[95:96], v[254:255], s[40:41], v[4:5]
	v_fma_f64 v[4:5], v[254:255], s[40:41], -v[4:5]
	v_add_f64 v[182:183], v[182:183], v[230:231]
	v_add_f64 v[76:77], v[86:87], v[76:77]
	v_fma_f64 v[86:87], v[24:25], s[40:41], -v[32:33]
	v_fma_f64 v[24:25], v[24:25], s[40:41], v[32:33]
	v_fma_f64 v[32:33], v[254:255], s[30:31], v[8:9]
	v_fma_f64 v[8:9], v[254:255], s[30:31], -v[8:9]
	v_add_f64 v[50:51], v[97:98], v[50:51]
	v_add_f64 v[46:47], v[95:96], v[46:47]
	;; [unrolled: 1-line block ×3, first 2 shown]
	v_mul_f64 v[4:5], v[42:43], s[24:25]
	v_add_f64 v[44:45], v[182:183], v[44:45]
	v_mul_f64 v[95:96], v[22:23], s[46:47]
	v_add_f64 v[2:3], v[86:87], v[48:49]
	v_mul_f64 v[48:49], v[40:41], s[38:39]
	v_mul_f64 v[40:41], v[40:41], s[56:57]
	v_add_f64 v[8:9], v[8:9], v[14:15]
	v_fma_f64 v[14:15], v[38:39], s[10:11], -v[184:185]
	v_add_f64 v[6:7], v[24:25], v[6:7]
	v_mul_f64 v[24:25], v[18:19], s[46:47]
	v_mul_f64 v[18:19], v[18:19], s[56:57]
	;; [unrolled: 1-line block ×3, first 2 shown]
	v_add_f64 v[32:33], v[32:33], v[82:83]
	v_add_f64 v[4:5], v[242:243], -v[4:5]
	v_add_f64 v[48:49], v[240:241], -v[48:49]
	v_add_f64 v[14:15], v[14:15], v[76:77]
	v_fma_f64 v[76:77], v[38:39], s[26:27], -v[40:41]
	v_fma_f64 v[38:39], v[38:39], s[26:27], v[40:41]
	v_fma_f64 v[40:41], v[16:17], s[10:11], v[24:25]
	v_fma_f64 v[24:25], v[16:17], s[10:11], -v[24:25]
	v_fma_f64 v[82:83], v[16:17], s[26:27], v[18:19]
	v_fma_f64 v[16:17], v[16:17], s[26:27], -v[18:19]
	v_add_f64 v[86:87], v[86:87], v[228:229]
	v_add_f64 v[18:19], v[48:49], v[50:51]
	v_mul_f64 v[50:51], v[42:43], s[8:9]
	v_mul_f64 v[42:43], v[42:43], s[54:55]
	;; [unrolled: 1-line block ×3, first 2 shown]
	v_add_f64 v[2:3], v[76:77], v[2:3]
	v_add_f64 v[6:7], v[38:39], v[6:7]
	;; [unrolled: 1-line block ×3, first 2 shown]
	v_mul_f64 v[40:41], v[30:31], s[8:9]
	v_mul_f64 v[30:31], v[30:31], s[54:55]
	v_add_f64 v[8:9], v[24:25], v[8:9]
	v_add_f64 v[44:45], v[86:87], v[44:45]
	;; [unrolled: 1-line block ×3, first 2 shown]
	v_mul_f64 v[82:83], v[28:29], s[50:51]
	v_add_f64 v[0:1], v[16:17], v[0:1]
	v_mul_f64 v[16:17], v[10:11], s[26:27]
	v_add_f64 v[4:5], v[4:5], v[18:19]
	v_fma_f64 v[76:77], v[34:35], s[2:3], -v[50:51]
	v_fma_f64 v[24:25], v[34:35], s[2:3], v[50:51]
	v_fma_f64 v[50:51], v[34:35], s[30:31], -v[42:43]
	v_fma_f64 v[34:35], v[34:35], s[30:31], v[42:43]
	v_add_f64 v[48:49], v[48:49], v[218:219]
	v_mul_f64 v[18:19], v[28:29], s[18:19]
	v_fma_f64 v[38:39], v[20:21], s[2:3], v[40:41]
	v_fma_f64 v[40:41], v[20:21], s[2:3], -v[40:41]
	v_fma_f64 v[42:43], v[20:21], s[30:31], v[30:31]
	v_fma_f64 v[20:21], v[20:21], s[30:31], -v[30:31]
	v_mul_f64 v[30:31], v[36:37], s[36:37]
	v_mul_f64 v[28:29], v[28:29], s[48:49]
	v_add_f64 v[16:17], v[16:17], v[226:227]
	v_add_f64 v[14:15], v[76:77], v[14:15]
	v_mul_f64 v[76:77], v[36:37], s[18:19]
	v_mul_f64 v[36:37], v[36:37], s[48:49]
	v_add_f64 v[2:3], v[50:51], v[2:3]
	v_add_f64 v[44:45], v[48:49], v[44:45]
	;; [unrolled: 1-line block ×4, first 2 shown]
	v_fma_f64 v[48:49], v[26:27], s[22:23], v[180:181]
	v_add_f64 v[8:9], v[40:41], v[8:9]
	v_add_f64 v[42:43], v[42:43], v[46:47]
	v_add_f64 v[30:31], v[210:211], -v[30:31]
	v_mul_f64 v[46:47], v[22:23], s[42:43]
	v_mul_f64 v[40:41], v[248:249], s[40:41]
	v_fma_f64 v[78:79], v[10:11], s[22:23], v[82:83]
	v_fma_f64 v[86:87], v[10:11], s[16:17], v[28:29]
	v_add_f64 v[6:7], v[34:35], v[6:7]
	v_mul_f64 v[34:35], v[22:23], s[36:37]
	v_add_f64 v[0:1], v[20:21], v[0:1]
	v_mul_f64 v[20:21], v[12:13], s[44:45]
	v_fma_f64 v[50:51], v[26:27], s[20:21], -v[76:77]
	v_fma_f64 v[38:39], v[26:27], s[16:17], -v[36:37]
	v_fma_f64 v[76:77], v[26:27], s[20:21], v[76:77]
	v_fma_f64 v[26:27], v[26:27], s[16:17], v[36:37]
	;; [unrolled: 1-line block ×3, first 2 shown]
	v_fma_f64 v[18:19], v[10:11], s[20:21], -v[18:19]
	v_add_f64 v[16:17], v[16:17], v[44:45]
	v_fma_f64 v[44:45], v[252:253], s[10:11], -v[95:96]
	v_add_f64 v[48:49], v[48:49], v[64:65]
	v_add_f64 v[4:5], v[30:31], v[4:5]
	v_add_f64 v[46:47], v[222:223], -v[46:47]
	v_add_f64 v[30:31], v[40:41], v[102:103]
	v_add_f64 v[78:79], v[78:79], v[84:85]
	;; [unrolled: 1-line block ×3, first 2 shown]
	v_fma_f64 v[95:96], v[252:253], s[10:11], v[95:96]
	v_fma_f64 v[86:87], v[248:249], s[2:3], v[20:21]
	v_fma_f64 v[188:189], v[248:249], s[2:3], -v[20:21]
	v_add_f64 v[20:21], v[172:173], v[58:59]
	v_add_f64 v[14:15], v[50:51], v[14:15]
	;; [unrolled: 1-line block ×3, first 2 shown]
	v_mul_f64 v[2:3], v[12:13], s[36:37]
	v_fma_f64 v[50:51], v[10:11], s[22:23], -v[82:83]
	v_add_f64 v[32:33], v[36:37], v[32:33]
	v_add_f64 v[76:77], v[76:77], v[24:25]
	v_mul_f64 v[82:83], v[22:23], s[24:25]
	v_mul_f64 v[22:23], v[22:23], s[44:45]
	v_fma_f64 v[10:11], v[10:11], s[16:17], -v[28:29]
	v_mul_f64 v[28:29], v[12:13], s[46:47]
	v_mul_f64 v[12:13], v[12:13], s[24:25]
	v_fma_f64 v[36:37], v[252:253], s[26:27], -v[34:35]
	v_fma_f64 v[34:35], v[252:253], s[26:27], v[34:35]
	v_add_f64 v[186:187], v[26:27], v[6:7]
	v_add_f64 v[16:17], v[30:31], v[16:17]
	v_add_f64 v[6:7], v[44:45], v[66:67]
	v_add_f64 v[30:31], v[95:96], v[48:49]
	v_fma_f64 v[24:25], v[248:249], s[26:27], v[2:3]
	v_add_f64 v[50:51], v[50:51], v[90:91]
	v_add_f64 v[90:91], v[18:19], v[8:9]
	v_fma_f64 v[182:183], v[248:249], s[26:27], -v[2:3]
	v_fma_f64 v[40:41], v[252:253], s[22:23], -v[82:83]
	;; [unrolled: 1-line block ×3, first 2 shown]
	v_fma_f64 v[82:83], v[252:253], s[22:23], v[82:83]
	v_fma_f64 v[64:65], v[248:249], s[10:11], v[28:29]
	v_fma_f64 v[97:98], v[248:249], s[22:23], v[12:13]
	v_fma_f64 v[180:181], v[248:249], s[22:23], -v[12:13]
	v_fma_f64 v[28:29], v[248:249], s[10:11], -v[28:29]
	v_fma_f64 v[184:185], v[252:253], s[2:3], v[22:23]
	v_add_f64 v[190:191], v[10:11], v[0:1]
	v_add_f64 v[22:23], v[174:175], v[56:57]
	;; [unrolled: 1-line block ×7, first 2 shown]
	buffer_load_dword v32, off, s[60:63], 0 offset:8 ; 4-byte Folded Reload
	v_add_f64 v[2:3], v[40:41], v[60:61]
	v_add_f64 v[14:15], v[84:85], v[38:39]
	;; [unrolled: 1-line block ×6, first 2 shown]
	v_mov_b32_e32 v41, 4
	v_add_f64 v[28:29], v[28:29], v[50:51]
	v_add_f64 v[38:39], v[184:185], v[186:187]
	;; [unrolled: 1-line block ×3, first 2 shown]
	s_waitcnt vmcnt(0)
	v_mul_lo_u16 v40, v32, 17
	v_add_f64 v[32:33], v[182:183], v[90:91]
	v_lshlrev_b32_sdwa v40, v41, v40 dst_sel:DWORD dst_unused:UNUSED_PAD src0_sel:DWORD src1_sel:WORD_0
	ds_write_b128 v40, v[20:23]
	ds_write_b128 v40, v[16:19] offset:16
	ds_write_b128 v40, v[12:15] offset:32
	;; [unrolled: 1-line block ×16, first 2 shown]
.LBB0_17:
	s_or_b32 exec_lo, exec_lo, s1
	s_waitcnt lgkmcnt(0)
	s_barrier
	buffer_gl0_inv
	ds_read_b128 v[0:3], v92 offset:13056
	ds_read_b128 v[4:7], v92 offset:14688
	;; [unrolled: 1-line block ×3, first 2 shown]
	s_clause 0x3
	buffer_load_dword v42, off, s[60:63], 0 offset:44
	buffer_load_dword v43, off, s[60:63], 0 offset:48
	;; [unrolled: 1-line block ×4, first 2 shown]
	ds_read_b128 v[12:15], v92 offset:17952
	s_clause 0x3
	buffer_load_dword v48, off, s[60:63], 0 offset:28
	buffer_load_dword v49, off, s[60:63], 0 offset:32
	;; [unrolled: 1-line block ×4, first 2 shown]
	ds_read_b128 v[16:19], v92 offset:19584
	ds_read_b128 v[20:23], v92 offset:21216
	s_clause 0x3
	buffer_load_dword v56, off, s[60:63], 0 offset:140
	buffer_load_dword v57, off, s[60:63], 0 offset:144
	;; [unrolled: 1-line block ×4, first 2 shown]
	ds_read_b128 v[24:27], v92 offset:22848
	s_waitcnt vmcnt(8) lgkmcnt(6)
	v_mul_f64 v[28:29], v[44:45], v[2:3]
	v_mul_f64 v[30:31], v[44:45], v[0:1]
	s_waitcnt vmcnt(4) lgkmcnt(5)
	v_mul_f64 v[32:33], v[50:51], v[6:7]
	v_mul_f64 v[34:35], v[50:51], v[4:5]
	;; [unrolled: 3-line block ×3, first 2 shown]
	v_fma_f64 v[40:41], v[42:43], v[0:1], v[28:29]
	v_fma_f64 v[42:43], v[42:43], v[2:3], -v[30:31]
	ds_read_b128 v[0:3], v92 offset:24480
	s_clause 0x13
	buffer_load_dword v62, off, s[60:63], 0 offset:124
	buffer_load_dword v63, off, s[60:63], 0 offset:128
	;; [unrolled: 1-line block ×20, first 2 shown]
	v_fma_f64 v[46:47], v[48:49], v[4:5], v[32:33]
	v_fma_f64 v[48:49], v[48:49], v[6:7], -v[34:35]
	v_fma_f64 v[54:55], v[56:57], v[8:9], v[36:37]
	v_fma_f64 v[56:57], v[56:57], v[10:11], -v[38:39]
	ds_read_b128 v[4:7], v92
	ds_read_b128 v[8:11], v92 offset:1632
	s_waitcnt vmcnt(16) lgkmcnt(6)
	v_mul_f64 v[28:29], v[64:65], v[14:15]
	s_waitcnt vmcnt(12) lgkmcnt(5)
	v_mul_f64 v[44:45], v[68:69], v[18:19]
	v_mul_f64 v[30:31], v[64:65], v[12:13]
	;; [unrolled: 1-line block ×3, first 2 shown]
	s_waitcnt vmcnt(8) lgkmcnt(4)
	v_mul_f64 v[34:35], v[72:73], v[22:23]
	v_mul_f64 v[50:51], v[72:73], v[20:21]
	s_waitcnt vmcnt(4) lgkmcnt(3)
	v_mul_f64 v[52:53], v[76:77], v[26:27]
	v_mul_f64 v[36:37], v[76:77], v[24:25]
	;; [unrolled: 3-line block ×3, first 2 shown]
	v_fma_f64 v[60:61], v[62:63], v[12:13], v[28:29]
	v_fma_f64 v[64:65], v[66:67], v[16:17], v[44:45]
	v_fma_f64 v[62:63], v[62:63], v[14:15], -v[30:31]
	v_fma_f64 v[66:67], v[66:67], v[18:19], -v[32:33]
	ds_read_b128 v[12:15], v92 offset:3264
	ds_read_b128 v[16:19], v92 offset:4896
	v_fma_f64 v[68:69], v[70:71], v[20:21], v[34:35]
	v_fma_f64 v[70:71], v[70:71], v[22:23], -v[50:51]
	ds_read_b128 v[20:23], v92 offset:6528
	ds_read_b128 v[28:31], v92 offset:8160
	v_fma_f64 v[72:73], v[74:75], v[24:25], v[52:53]
	v_fma_f64 v[74:75], v[74:75], v[26:27], -v[36:37]
	v_fma_f64 v[76:77], v[78:79], v[0:1], v[38:39]
	ds_read_b128 v[24:27], v92 offset:9792
	v_fma_f64 v[78:79], v[78:79], v[2:3], -v[58:59]
	ds_read_b128 v[0:3], v92 offset:11424
	s_waitcnt lgkmcnt(6)
	v_add_f64 v[38:39], v[10:11], -v[48:49]
	s_waitcnt lgkmcnt(0)
	s_barrier
	buffer_gl0_inv
	v_add_f64 v[32:33], v[4:5], -v[40:41]
	v_add_f64 v[34:35], v[6:7], -v[42:43]
	;; [unrolled: 1-line block ×7, first 2 shown]
	buffer_load_dword v64, off, s[60:63], 0 offset:436 ; 4-byte Folded Reload
	v_add_f64 v[46:47], v[18:19], -v[62:63]
	v_add_f64 v[50:51], v[22:23], -v[66:67]
	;; [unrolled: 1-line block ×8, first 2 shown]
	v_fma_f64 v[10:11], v[10:11], 2.0, -v[38:39]
	v_fma_f64 v[4:5], v[4:5], 2.0, -v[32:33]
	;; [unrolled: 1-line block ×4, first 2 shown]
	s_waitcnt vmcnt(0)
	ds_write_b128 v64, v[32:35] offset:272
	ds_write_b128 v64, v[4:7]
	buffer_load_dword v4, off, s[60:63], 0 offset:456 ; 4-byte Folded Reload
	v_fma_f64 v[12:13], v[12:13], 2.0, -v[40:41]
	v_fma_f64 v[14:15], v[14:15], 2.0, -v[42:43]
	;; [unrolled: 1-line block ×12, first 2 shown]
	s_waitcnt vmcnt(0)
	ds_write_b128 v4, v[8:11]
	ds_write_b128 v4, v[36:39] offset:272
	buffer_load_dword v4, off, s[60:63], 0 offset:432 ; 4-byte Folded Reload
	s_waitcnt vmcnt(0)
	ds_write_b128 v4, v[12:15]
	ds_write_b128 v4, v[40:43] offset:272
	buffer_load_dword v4, off, s[60:63], 0 offset:412 ; 4-byte Folded Reload
	;; [unrolled: 4-line block ×6, first 2 shown]
	s_waitcnt vmcnt(0)
	ds_write_b128 v4, v[0:3]
	ds_write_b128 v4, v[60:63] offset:272
	s_waitcnt lgkmcnt(0)
	s_barrier
	buffer_gl0_inv
	ds_read_b128 v[0:3], v92 offset:13056
	ds_read_b128 v[4:7], v92 offset:14688
	;; [unrolled: 1-line block ×8, first 2 shown]
	s_clause 0x1f
	buffer_load_dword v52, off, s[60:63], 0 offset:268
	buffer_load_dword v53, off, s[60:63], 0 offset:272
	;; [unrolled: 1-line block ×32, first 2 shown]
	ds_read_b128 v[32:35], v92
	ds_read_b128 v[36:39], v92 offset:1632
	ds_read_b128 v[40:43], v92 offset:3264
	;; [unrolled: 1-line block ×3, first 2 shown]
	s_waitcnt vmcnt(28) lgkmcnt(11)
	v_mul_f64 v[48:49], v[54:55], v[2:3]
	v_mul_f64 v[50:51], v[54:55], v[0:1]
	s_waitcnt vmcnt(24) lgkmcnt(10)
	v_mul_f64 v[56:57], v[186:187], v[6:7]
	s_waitcnt vmcnt(16) lgkmcnt(8)
	v_mul_f64 v[64:65], v[114:115], v[14:15]
	v_mul_f64 v[58:59], v[186:187], v[4:5]
	;; [unrolled: 1-line block ×4, first 2 shown]
	s_waitcnt vmcnt(4) lgkmcnt(5)
	v_mul_f64 v[76:77], v[90:91], v[26:27]
	v_mul_f64 v[78:79], v[90:91], v[24:25]
	;; [unrolled: 1-line block ×7, first 2 shown]
	s_waitcnt vmcnt(0) lgkmcnt(4)
	v_mul_f64 v[80:81], v[86:87], v[30:31]
	v_mul_f64 v[82:83], v[86:87], v[28:29]
	v_fma_f64 v[0:1], v[52:53], v[0:1], v[48:49]
	v_fma_f64 v[2:3], v[52:53], v[2:3], -v[50:51]
	ds_read_b128 v[48:51], v92 offset:6528
	ds_read_b128 v[52:55], v92 offset:8160
	v_fma_f64 v[64:65], v[112:113], v[12:13], v[64:65]
	v_fma_f64 v[56:57], v[184:185], v[4:5], v[56:57]
	v_fma_f64 v[58:59], v[184:185], v[6:7], -v[58:59]
	v_fma_f64 v[60:61], v[95:96], v[8:9], v[60:61]
	v_fma_f64 v[62:63], v[95:96], v[10:11], -v[62:63]
	v_fma_f64 v[76:77], v[88:89], v[24:25], v[76:77]
	ds_read_b128 v[4:7], v92 offset:9792
	ds_read_b128 v[8:11], v92 offset:11424
	s_waitcnt lgkmcnt(0)
	s_barrier
	buffer_gl0_inv
	v_fma_f64 v[66:67], v[112:113], v[14:15], -v[66:67]
	v_fma_f64 v[68:69], v[172:173], v[16:17], v[68:69]
	v_fma_f64 v[70:71], v[172:173], v[18:19], -v[70:71]
	v_fma_f64 v[72:73], v[180:181], v[20:21], v[72:73]
	v_fma_f64 v[74:75], v[180:181], v[22:23], -v[74:75]
	v_fma_f64 v[78:79], v[88:89], v[26:27], -v[78:79]
	v_fma_f64 v[80:81], v[84:85], v[28:29], v[80:81]
	v_fma_f64 v[82:83], v[84:85], v[30:31], -v[82:83]
	v_add_f64 v[12:13], v[32:33], -v[0:1]
	v_add_f64 v[14:15], v[34:35], -v[2:3]
	;; [unrolled: 1-line block ×3, first 2 shown]
	buffer_load_dword v64, off, s[60:63], 0 offset:324 ; 4-byte Folded Reload
	v_add_f64 v[16:17], v[36:37], -v[56:57]
	v_add_f64 v[18:19], v[38:39], -v[58:59]
	;; [unrolled: 1-line block ×13, first 2 shown]
	v_fma_f64 v[32:33], v[32:33], 2.0, -v[12:13]
	v_fma_f64 v[34:35], v[34:35], 2.0, -v[14:15]
	s_waitcnt vmcnt(0)
	ds_write_b128 v64, v[12:15] offset:544
	ds_write_b128 v64, v[32:35]
	buffer_load_dword v12, off, s[60:63], 0 offset:360 ; 4-byte Folded Reload
	v_fma_f64 v[36:37], v[36:37], 2.0, -v[16:17]
	v_fma_f64 v[38:39], v[38:39], 2.0, -v[18:19]
	;; [unrolled: 1-line block ×14, first 2 shown]
	s_waitcnt vmcnt(0)
	ds_write_b128 v12, v[36:39]
	ds_write_b128 v12, v[16:19] offset:544
	buffer_load_dword v12, off, s[60:63], 0 offset:320 ; 4-byte Folded Reload
	s_waitcnt vmcnt(0)
	ds_write_b128 v12, v[40:43]
	ds_write_b128 v12, v[20:23] offset:544
	buffer_load_dword v12, off, s[60:63], 0 offset:316 ; 4-byte Folded Reload
	;; [unrolled: 4-line block ×5, first 2 shown]
	s_waitcnt vmcnt(0)
	ds_write_b128 v12, v[4:7]
	ds_write_b128 v12, v[60:63] offset:544
	ds_write_b128 v101, v[8:11]
	ds_write_b128 v101, v[0:3] offset:544
	s_waitcnt lgkmcnt(0)
	s_barrier
	buffer_gl0_inv
	ds_read_b128 v[20:23], v92
	ds_read_b128 v[12:15], v92 offset:1632
	ds_read_b128 v[56:59], v92 offset:17408
	;; [unrolled: 1-line block ×14, first 2 shown]
	s_and_saveexec_b32 s1, s0
	s_cbranch_execz .LBB0_19
; %bb.18:
	ds_read_b128 v[0:3], v92 offset:8160
	ds_read_b128 v[176:179], v92 offset:16864
	;; [unrolled: 1-line block ×3, first 2 shown]
	s_waitcnt lgkmcnt(0)
	buffer_store_dword v64, off, s[60:63], 0 offset:12 ; 4-byte Folded Spill
	buffer_store_dword v65, off, s[60:63], 0 offset:16 ; 4-byte Folded Spill
	;; [unrolled: 1-line block ×4, first 2 shown]
.LBB0_19:
	s_or_b32 exec_lo, exec_lo, s1
	s_clause 0x7
	buffer_load_dword v172, off, s[60:63], 0 offset:288
	buffer_load_dword v173, off, s[60:63], 0 offset:292
	buffer_load_dword v174, off, s[60:63], 0 offset:296
	buffer_load_dword v175, off, s[60:63], 0 offset:300
	buffer_load_dword v180, off, s[60:63], 0 offset:328
	buffer_load_dword v181, off, s[60:63], 0 offset:332
	buffer_load_dword v182, off, s[60:63], 0 offset:336
	buffer_load_dword v183, off, s[60:63], 0 offset:340
	s_waitcnt lgkmcnt(0)
	v_mul_f64 v[112:113], v[110:111], v[30:31]
	s_mov_b32 s2, 0xe8584caa
	s_mov_b32 s3, 0xbfebb67a
	;; [unrolled: 1-line block ×4, first 2 shown]
	s_waitcnt vmcnt(4)
	v_mul_f64 v[64:65], v[174:175], v[62:63]
	s_waitcnt vmcnt(0)
	v_mul_f64 v[66:67], v[182:183], v[58:59]
	v_mul_f64 v[70:71], v[182:183], v[56:57]
	s_clause 0x7
	buffer_load_dword v182, off, s[60:63], 0 offset:344
	buffer_load_dword v183, off, s[60:63], 0 offset:348
	;; [unrolled: 1-line block ×8, first 2 shown]
	v_mul_f64 v[68:69], v[174:175], v[60:61]
	v_fma_f64 v[60:61], v[172:173], v[60:61], v[64:65]
	v_mul_f64 v[64:65], v[106:107], v[24:25]
	v_fma_f64 v[56:57], v[180:181], v[56:57], v[66:67]
	v_fma_f64 v[58:59], v[180:181], v[58:59], -v[70:71]
	v_mul_f64 v[66:67], v[110:111], v[28:29]
	v_fma_f64 v[62:63], v[172:173], v[62:63], -v[68:69]
	s_waitcnt vmcnt(4)
	v_mul_f64 v[72:73], v[184:185], v[54:55]
	s_waitcnt vmcnt(0)
	v_mul_f64 v[74:75], v[190:191], v[50:51]
	v_mul_f64 v[76:77], v[184:185], v[52:53]
	;; [unrolled: 1-line block ×3, first 2 shown]
	s_clause 0x7
	buffer_load_dword v184, off, s[60:63], 0 offset:364
	buffer_load_dword v185, off, s[60:63], 0 offset:368
	;; [unrolled: 1-line block ×8, first 2 shown]
	v_fma_f64 v[52:53], v[182:183], v[52:53], v[72:73]
	v_fma_f64 v[48:49], v[188:189], v[48:49], v[74:75]
	v_fma_f64 v[54:55], v[182:183], v[54:55], -v[76:77]
	v_fma_f64 v[50:51], v[188:189], v[50:51], -v[78:79]
	v_fma_f64 v[72:73], v[108:109], v[28:29], v[112:113]
	v_add_f64 v[28:29], v[60:61], v[56:57]
	v_add_f64 v[76:77], v[12:13], v[52:53]
	;; [unrolled: 1-line block ×3, first 2 shown]
	s_waitcnt vmcnt(4)
	v_mul_f64 v[80:81], v[186:187], v[34:35]
	s_waitcnt vmcnt(0)
	v_mul_f64 v[82:83], v[192:193], v[42:43]
	v_mul_f64 v[86:87], v[192:193], v[40:41]
	s_clause 0x7
	buffer_load_dword v192, off, s[60:63], 0 offset:440
	buffer_load_dword v193, off, s[60:63], 0 offset:444
	buffer_load_dword v194, off, s[60:63], 0 offset:448
	buffer_load_dword v195, off, s[60:63], 0 offset:452
	buffer_load_dword v99, off, s[60:63], 0 offset:476
	buffer_load_dword v100, off, s[60:63], 0 offset:480
	buffer_load_dword v101, off, s[60:63], 0 offset:484
	buffer_load_dword v102, off, s[60:63], 0 offset:488
	v_mul_f64 v[84:85], v[186:187], v[32:33]
	s_waitcnt vmcnt(0)
	s_waitcnt_vscnt null, 0x0
	s_barrier
	buffer_gl0_inv
	v_fma_f64 v[32:33], v[184:185], v[32:33], v[80:81]
	v_fma_f64 v[40:41], v[190:191], v[40:41], v[82:83]
	v_add_f64 v[80:81], v[54:55], -v[50:51]
	v_add_f64 v[54:55], v[14:15], v[54:55]
	v_fma_f64 v[42:43], v[190:191], v[42:43], -v[86:87]
	v_fma_f64 v[34:35], v[184:185], v[34:35], -v[84:85]
	v_add_f64 v[84:85], v[16:17], v[32:33]
	v_add_f64 v[78:79], v[32:33], v[40:41]
	;; [unrolled: 1-line block ×3, first 2 shown]
	v_mul_f64 v[90:91], v[194:195], v[44:45]
	v_mul_f64 v[97:98], v[101:102], v[36:37]
	;; [unrolled: 1-line block ×5, first 2 shown]
	v_fma_f64 v[26:27], v[104:105], v[26:27], -v[64:65]
	v_fma_f64 v[64:65], v[108:109], v[30:31], -v[66:67]
	v_add_f64 v[66:67], v[62:63], -v[58:59]
	v_add_f64 v[30:31], v[20:21], v[60:61]
	v_fma_f64 v[20:21], v[28:29], -0.5, v[20:21]
	v_add_f64 v[60:61], v[60:61], -v[56:57]
	v_fma_f64 v[46:47], v[192:193], v[46:47], -v[90:91]
	v_fma_f64 v[70:71], v[99:100], v[38:39], -v[97:98]
	v_add_f64 v[38:39], v[52:53], v[48:49]
	v_fma_f64 v[68:69], v[99:100], v[36:37], v[95:96]
	v_fma_f64 v[24:25], v[104:105], v[24:25], v[102:103]
	v_add_f64 v[36:37], v[62:63], v[58:59]
	v_add_f64 v[62:63], v[22:23], v[62:63]
	;; [unrolled: 1-line block ×3, first 2 shown]
	v_add_f64 v[97:98], v[32:33], -v[40:41]
	v_add_f64 v[28:29], v[26:27], v[64:65]
	v_fma_f64 v[44:45], v[192:193], v[44:45], v[88:89]
	v_add_f64 v[88:89], v[34:35], -v[42:43]
	v_add_f64 v[34:35], v[18:19], v[34:35]
	v_add_f64 v[52:53], v[52:53], -v[48:49]
	v_add_f64 v[90:91], v[46:47], v[70:71]
	v_fma_f64 v[32:33], v[38:39], -0.5, v[12:13]
	v_add_f64 v[101:102], v[46:47], -v[70:71]
	v_add_f64 v[46:47], v[10:11], v[46:47]
	v_fma_f64 v[22:23], v[36:37], -0.5, v[22:23]
	v_fma_f64 v[36:37], v[74:75], -0.5, v[14:15]
	;; [unrolled: 1-line block ×3, first 2 shown]
	v_add_f64 v[78:79], v[26:27], -v[64:65]
	v_add_f64 v[14:15], v[62:63], v[58:59]
	v_add_f64 v[12:13], v[30:31], v[56:57]
	;; [unrolled: 1-line block ×4, first 2 shown]
	v_add_f64 v[74:75], v[44:45], -v[68:69]
	v_fma_f64 v[44:45], v[82:83], -0.5, v[18:19]
	v_fma_f64 v[16:17], v[66:67], s[2:3], v[20:21]
	v_fma_f64 v[20:21], v[66:67], s[8:9], v[20:21]
	v_add_f64 v[95:96], v[24:25], v[72:73]
	v_add_f64 v[103:104], v[4:5], v[24:25]
	v_fma_f64 v[66:67], v[28:29], -0.5, v[6:7]
	v_add_f64 v[28:29], v[84:85], v[40:41]
	v_add_f64 v[30:31], v[34:35], v[42:43]
	v_fma_f64 v[58:59], v[90:91], -0.5, v[10:11]
	v_add_f64 v[10:11], v[54:55], v[50:51]
	v_add_f64 v[54:55], v[105:106], v[64:65]
	buffer_load_dword v64, off, s[60:63], 0 offset:460 ; 4-byte Folded Reload
	v_fma_f64 v[18:19], v[60:61], s[8:9], v[22:23]
	v_fma_f64 v[22:23], v[60:61], s[2:3], v[22:23]
	;; [unrolled: 1-line block ×5, first 2 shown]
	v_add_f64 v[42:43], v[46:47], v[70:71]
	v_fma_f64 v[56:57], v[86:87], -0.5, v[8:9]
	v_add_f64 v[8:9], v[76:77], v[48:49]
	v_add_f64 v[76:77], v[24:25], -v[72:73]
	v_fma_f64 v[24:25], v[80:81], s[8:9], v[32:33]
	v_fma_f64 v[34:35], v[97:98], s[8:9], v[44:45]
	v_add_f64 v[40:41], v[99:100], v[68:69]
	v_fma_f64 v[62:63], v[95:96], -0.5, v[4:5]
	v_fma_f64 v[4:5], v[80:81], s[2:3], v[32:33]
	v_fma_f64 v[32:33], v[88:89], s[2:3], v[38:39]
	;; [unrolled: 1-line block ×3, first 2 shown]
	v_add_f64 v[52:53], v[103:104], v[72:73]
	s_waitcnt vmcnt(0)
	ds_write_b128 v64, v[12:15]
	ds_write_b128 v64, v[16:19] offset:1088
	ds_write_b128 v64, v[20:23] offset:2176
	buffer_load_dword v12, off, s[60:63], 0 offset:472 ; 4-byte Folded Reload
	v_fma_f64 v[44:45], v[101:102], s[2:3], v[56:57]
	v_fma_f64 v[46:47], v[74:75], s[8:9], v[58:59]
	;; [unrolled: 1-line block ×8, first 2 shown]
	s_waitcnt vmcnt(0)
	ds_write_b128 v12, v[8:11]
	ds_write_b128 v12, v[4:7] offset:1088
	ds_write_b128 v12, v[24:27] offset:2176
	buffer_load_dword v4, off, s[60:63], 0 offset:468 ; 4-byte Folded Reload
	s_waitcnt vmcnt(0)
	ds_write_b128 v4, v[28:31]
	ds_write_b128 v4, v[32:35] offset:1088
	ds_write_b128 v4, v[36:39] offset:2176
	buffer_load_dword v4, off, s[60:63], 0 offset:464 ; 4-byte Folded Reload
	s_waitcnt vmcnt(0)
	ds_write_b128 v4, v[40:43]
	ds_write_b128 v4, v[44:47] offset:1088
	ds_write_b128 v4, v[48:51] offset:2176
	ds_write_b128 v93, v[52:55]
	ds_write_b128 v93, v[56:59] offset:1088
	ds_write_b128 v93, v[60:63] offset:2176
	s_mov_b32 s1, exec_lo
	buffer_load_dword v93, off, s[60:63], 0 offset:8 ; 4-byte Folded Reload
	s_and_b32 s0, s1, s0
	s_mov_b32 exec_lo, s0
	s_cbranch_execz .LBB0_21
; %bb.20:
	s_clause 0xb
	buffer_load_dword v12, off, s[60:63], 0 offset:508
	buffer_load_dword v13, off, s[60:63], 0 offset:512
	;; [unrolled: 1-line block ×12, first 2 shown]
	s_waitcnt vmcnt(8)
	v_mul_f64 v[4:5], v[14:15], v[176:177]
	s_waitcnt vmcnt(2)
	v_mul_f64 v[6:7], v[18:19], v[20:21]
	v_mul_f64 v[8:9], v[14:15], v[178:179]
	s_waitcnt vmcnt(0)
	v_mul_f64 v[10:11], v[18:19], v[22:23]
	v_fma_f64 v[4:5], v[12:13], v[178:179], -v[4:5]
	v_fma_f64 v[6:7], v[16:17], v[22:23], -v[6:7]
	v_fma_f64 v[8:9], v[12:13], v[176:177], v[8:9]
	v_fma_f64 v[10:11], v[16:17], v[20:21], v[10:11]
	v_add_f64 v[18:19], v[2:3], v[4:5]
	v_add_f64 v[12:13], v[4:5], v[6:7]
	v_add_f64 v[4:5], v[4:5], -v[6:7]
	v_add_f64 v[14:15], v[8:9], v[10:11]
	v_add_f64 v[16:17], v[8:9], -v[10:11]
	v_add_f64 v[8:9], v[0:1], v[8:9]
	v_fma_f64 v[12:13], v[12:13], -0.5, v[2:3]
	v_add_f64 v[2:3], v[18:19], v[6:7]
	v_fma_f64 v[14:15], v[14:15], -0.5, v[0:1]
	v_add_f64 v[0:1], v[8:9], v[10:11]
	v_fma_f64 v[6:7], v[16:17], s[2:3], v[12:13]
	v_fma_f64 v[10:11], v[16:17], s[8:9], v[12:13]
	buffer_load_dword v13, off, s[60:63], 0 offset:284 ; 4-byte Folded Reload
	v_fma_f64 v[8:9], v[4:5], s[2:3], v[14:15]
	v_fma_f64 v[4:5], v[4:5], s[8:9], v[14:15]
	v_mov_b32_e32 v12, 4
	s_waitcnt vmcnt(0)
	v_lshlrev_b32_sdwa v12, v12, v13 dst_sel:DWORD dst_unused:UNUSED_PAD src0_sel:DWORD src1_sel:WORD_0
	ds_write_b128 v12, v[0:3] offset:22848
	ds_write_b128 v12, v[8:11] offset:23936
	;; [unrolled: 1-line block ×3, first 2 shown]
.LBB0_21:
	s_or_b32 exec_lo, exec_lo, s1
	s_waitcnt vmcnt(0) lgkmcnt(0)
	s_barrier
	buffer_gl0_inv
	ds_read_b128 v[0:3], v92 offset:3264
	ds_read_b128 v[4:7], v92 offset:6528
	;; [unrolled: 1-line block ×7, first 2 shown]
	ds_read_b128 v[28:31], v92
	ds_read_b128 v[32:35], v92 offset:1632
	ds_read_b128 v[36:39], v92 offset:4896
	;; [unrolled: 1-line block ×8, first 2 shown]
	s_mov_b32 s0, 0x667f3bcd
	s_mov_b32 s1, 0xbfe6a09e
	;; [unrolled: 1-line block ×4, first 2 shown]
	s_waitcnt lgkmcnt(15)
	v_mul_f64 v[64:65], v[118:119], v[2:3]
	v_mul_f64 v[66:67], v[118:119], v[0:1]
	s_waitcnt lgkmcnt(14)
	v_mul_f64 v[68:69], v[126:127], v[6:7]
	v_mul_f64 v[70:71], v[126:127], v[4:5]
	;; [unrolled: 3-line block ×11, first 2 shown]
	v_fma_f64 v[0:1], v[116:117], v[0:1], v[64:65]
	v_fma_f64 v[2:3], v[116:117], v[2:3], -v[66:67]
	v_fma_f64 v[4:5], v[124:125], v[4:5], v[68:69]
	v_fma_f64 v[6:7], v[124:125], v[6:7], -v[70:71]
	;; [unrolled: 2-line block ×3, first 2 shown]
	v_mul_f64 v[64:65], v[158:159], v[50:51]
	v_mul_f64 v[66:67], v[158:159], v[48:49]
	;; [unrolled: 1-line block ×6, first 2 shown]
	v_fma_f64 v[12:13], v[128:129], v[12:13], v[76:77]
	v_fma_f64 v[14:15], v[128:129], v[14:15], -v[78:79]
	v_fma_f64 v[20:21], v[140:141], v[20:21], v[84:85]
	v_fma_f64 v[22:23], v[140:141], v[22:23], -v[86:87]
	v_fma_f64 v[16:17], v[136:137], v[16:17], v[80:81]
	v_fma_f64 v[18:19], v[136:137], v[18:19], -v[82:83]
	v_fma_f64 v[24:25], v[132:133], v[24:25], v[88:89]
	v_fma_f64 v[26:27], v[132:133], v[26:27], -v[90:91]
	v_fma_f64 v[36:37], v[148:149], v[36:37], v[95:96]
	v_fma_f64 v[38:39], v[148:149], v[38:39], -v[97:98]
	v_fma_f64 v[40:41], v[144:145], v[40:41], v[99:100]
	v_fma_f64 v[42:43], v[144:145], v[42:43], -v[101:102]
	v_fma_f64 v[44:45], v[164:165], v[44:45], v[103:104]
	v_fma_f64 v[46:47], v[164:165], v[46:47], -v[105:106]
	v_fma_f64 v[60:61], v[168:169], v[60:61], v[107:108]
	v_fma_f64 v[62:63], v[168:169], v[62:63], -v[109:110]
	v_fma_f64 v[48:49], v[156:157], v[48:49], v[64:65]
	v_fma_f64 v[50:51], v[156:157], v[50:51], -v[66:67]
	v_fma_f64 v[56:57], v[152:153], v[56:57], v[68:69]
	v_fma_f64 v[58:59], v[152:153], v[58:59], -v[70:71]
	v_fma_f64 v[52:53], v[160:161], v[52:53], v[72:73]
	v_fma_f64 v[54:55], v[160:161], v[54:55], -v[74:75]
	v_add_f64 v[12:13], v[28:29], -v[12:13]
	v_add_f64 v[14:15], v[30:31], -v[14:15]
	;; [unrolled: 1-line block ×16, first 2 shown]
	v_fma_f64 v[28:29], v[28:29], 2.0, -v[12:13]
	v_fma_f64 v[30:31], v[30:31], 2.0, -v[14:15]
	;; [unrolled: 1-line block ×8, first 2 shown]
	v_add_f64 v[64:65], v[12:13], v[22:23]
	v_add_f64 v[66:67], v[14:15], -v[20:21]
	v_add_f64 v[20:21], v[16:17], v[26:27]
	v_add_f64 v[22:23], v[18:19], -v[24:25]
	v_fma_f64 v[24:25], v[32:33], 2.0, -v[48:49]
	v_fma_f64 v[26:27], v[34:35], 2.0, -v[50:51]
	;; [unrolled: 1-line block ×8, first 2 shown]
	v_add_f64 v[58:59], v[48:49], v[58:59]
	v_add_f64 v[56:57], v[50:51], -v[56:57]
	v_add_f64 v[44:45], v[52:53], v[62:63]
	v_add_f64 v[46:47], v[54:55], -v[60:61]
	v_add_f64 v[60:61], v[28:29], -v[4:5]
	;; [unrolled: 1-line block ×5, first 2 shown]
	v_fma_f64 v[68:69], v[12:13], 2.0, -v[64:65]
	v_fma_f64 v[70:71], v[14:15], 2.0, -v[66:67]
	;; [unrolled: 1-line block ×4, first 2 shown]
	v_fma_f64 v[12:13], v[20:21], s[2:3], v[64:65]
	v_fma_f64 v[14:15], v[22:23], s[2:3], v[66:67]
	v_add_f64 v[76:77], v[24:25], -v[32:33]
	v_add_f64 v[78:79], v[26:27], -v[34:35]
	;; [unrolled: 1-line block ×4, first 2 shown]
	v_fma_f64 v[80:81], v[48:49], 2.0, -v[58:59]
	v_fma_f64 v[82:83], v[50:51], 2.0, -v[56:57]
	;; [unrolled: 1-line block ×8, first 2 shown]
	v_fma_f64 v[40:41], v[44:45], s[2:3], v[58:59]
	v_fma_f64 v[42:43], v[46:47], s[2:3], v[56:57]
	;; [unrolled: 1-line block ×4, first 2 shown]
	v_add_f64 v[0:1], v[60:61], v[6:7]
	v_add_f64 v[2:3], v[62:63], -v[4:5]
	v_fma_f64 v[4:5], v[22:23], s[2:3], v[12:13]
	v_fma_f64 v[6:7], v[20:21], s[0:1], v[14:15]
	v_fma_f64 v[84:85], v[24:25], 2.0, -v[76:77]
	v_fma_f64 v[86:87], v[26:27], 2.0, -v[78:79]
	;; [unrolled: 1-line block ×4, first 2 shown]
	v_add_f64 v[8:9], v[76:77], v[8:9]
	v_add_f64 v[10:11], v[78:79], -v[10:11]
	v_fma_f64 v[36:37], v[32:33], s[0:1], v[80:81]
	v_fma_f64 v[38:39], v[34:35], s[0:1], v[82:83]
	v_add_f64 v[12:13], v[48:49], -v[16:17]
	v_add_f64 v[14:15], v[50:51], -v[18:19]
	v_fma_f64 v[16:17], v[46:47], s[2:3], v[40:41]
	v_fma_f64 v[18:19], v[44:45], s[0:1], v[42:43]
	v_fma_f64 v[20:21], v[74:75], s[2:3], v[28:29]
	v_fma_f64 v[22:23], v[72:73], s[0:1], v[30:31]
	v_add_f64 v[24:25], v[84:85], -v[24:25]
	v_add_f64 v[26:27], v[86:87], -v[26:27]
	v_fma_f64 v[40:41], v[76:77], 2.0, -v[8:9]
	v_fma_f64 v[42:43], v[78:79], 2.0, -v[10:11]
	v_fma_f64 v[28:29], v[34:35], s[2:3], v[36:37]
	v_fma_f64 v[30:31], v[32:33], s[0:1], v[38:39]
	v_fma_f64 v[32:33], v[60:61], 2.0, -v[0:1]
	v_fma_f64 v[34:35], v[62:63], 2.0, -v[2:3]
	;; [unrolled: 1-line block ×14, first 2 shown]
	ds_write_b128 v92, v[0:3] offset:19584
	ds_write_b128 v92, v[4:7] offset:22848
	;; [unrolled: 1-line block ×10, first 2 shown]
	ds_write_b128 v92, v[44:47]
	ds_write_b128 v92, v[52:55] offset:3264
	ds_write_b128 v92, v[56:59] offset:1632
	;; [unrolled: 1-line block ×5, first 2 shown]
	s_waitcnt lgkmcnt(0)
	s_barrier
	buffer_gl0_inv
	s_and_b32 exec_lo, exec_lo, vcc_lo
	s_cbranch_execz .LBB0_23
; %bb.22:
	global_load_dwordx4 v[0:3], v94, s[12:13]
	ds_read_b128 v[4:7], v92
	ds_read_b128 v[8:11], v94 offset:1536
	ds_read_b128 v[12:15], v94 offset:24576
	s_clause 0x1
	buffer_load_dword v18, off, s[60:63], 0
	buffer_load_dword v19, off, s[60:63], 0 offset:4
	s_mov_b32 s0, 0x14141414
	s_mov_b32 s1, 0x3f441414
	v_add_co_u32 v22, s2, s12, v94
	v_add_co_ci_u32_e64 v23, null, s13, 0, s2
	s_mul_i32 s2, s5, 0x600
	s_mul_hi_u32 s3, s4, 0x600
	s_mul_i32 s8, s4, 0xc00
	s_add_i32 s3, s3, s2
	s_mul_i32 s2, s5, 0xc00
	s_waitcnt vmcnt(2) lgkmcnt(2)
	v_mul_f64 v[16:17], v[6:7], v[2:3]
	v_mul_f64 v[2:3], v[4:5], v[2:3]
	s_waitcnt vmcnt(1)
	v_mov_b32_e32 v20, v18
	s_waitcnt vmcnt(0)
	v_mad_u64_u32 v[18:19], null, s6, v20, 0
	s_mul_i32 s6, s4, 0x600
	v_fma_f64 v[4:5], v[4:5], v[0:1], v[16:17]
	v_fma_f64 v[2:3], v[0:1], v[6:7], -v[2:3]
	v_mad_u64_u32 v[6:7], null, s4, v93, 0
	v_mov_b32_e32 v0, v19
	v_mov_b32_e32 v1, v7
	v_mad_u64_u32 v[16:17], null, s7, v20, v[0:1]
	s_mul_hi_u32 s7, s4, 0xc00
	s_add_i32 s7, s7, s2
	v_mov_b32_e32 v19, v16
	v_mad_u64_u32 v[20:21], null, s5, v93, v[1:2]
	v_mul_f64 v[0:1], v[4:5], s[0:1]
	v_mul_f64 v[2:3], v[2:3], s[0:1]
	v_lshlrev_b64 v[4:5], 4, v[18:19]
	v_mov_b32_e32 v7, v20
	v_add_co_u32 v20, vcc_lo, s14, v4
	v_add_co_ci_u32_e32 v21, vcc_lo, s15, v5, vcc_lo
	v_lshlrev_b64 v[6:7], 4, v[6:7]
	v_add_co_u32 v4, vcc_lo, v20, v6
	v_add_co_ci_u32_e32 v5, vcc_lo, v21, v7, vcc_lo
	v_add_co_u32 v16, vcc_lo, v4, s6
	global_store_dwordx4 v[4:5], v[0:3], off
	global_load_dwordx4 v[0:3], v94, s[12:13] offset:1536
	v_add_co_ci_u32_e32 v17, vcc_lo, s3, v5, vcc_lo
	v_add_co_u32 v4, vcc_lo, 0x800, v22
	v_add_co_ci_u32_e32 v5, vcc_lo, 0, v23, vcc_lo
	s_waitcnt vmcnt(0) lgkmcnt(1)
	v_mul_f64 v[6:7], v[10:11], v[2:3]
	v_mul_f64 v[2:3], v[8:9], v[2:3]
	v_fma_f64 v[6:7], v[8:9], v[0:1], v[6:7]
	v_fma_f64 v[2:3], v[0:1], v[10:11], -v[2:3]
	v_mul_f64 v[0:1], v[6:7], s[0:1]
	v_mul_f64 v[2:3], v[2:3], s[0:1]
	global_store_dwordx4 v[16:17], v[0:3], off
	global_load_dwordx4 v[0:3], v[4:5], off offset:1024
	ds_read_b128 v[4:7], v94 offset:3072
	ds_read_b128 v[8:11], v94 offset:4608
	buffer_load_dword v24, off, s[60:63], 0 offset:504 ; 4-byte Folded Reload
	s_waitcnt vmcnt(1) lgkmcnt(1)
	v_mul_f64 v[18:19], v[6:7], v[2:3]
	v_mul_f64 v[2:3], v[4:5], v[2:3]
	v_fma_f64 v[4:5], v[4:5], v[0:1], v[18:19]
	v_fma_f64 v[2:3], v[0:1], v[6:7], -v[2:3]
	v_mul_f64 v[0:1], v[4:5], s[0:1]
	v_mul_f64 v[2:3], v[2:3], s[0:1]
	v_add_co_u32 v4, vcc_lo, v16, s6
	v_add_co_ci_u32_e32 v5, vcc_lo, s3, v17, vcc_lo
	v_add_co_u32 v6, vcc_lo, 0x1000, v22
	v_add_co_ci_u32_e32 v7, vcc_lo, 0, v23, vcc_lo
	v_add_co_u32 v16, vcc_lo, v4, s6
	v_add_co_ci_u32_e32 v17, vcc_lo, s3, v5, vcc_lo
	global_store_dwordx4 v[4:5], v[0:3], off
	global_load_dwordx4 v[0:3], v[6:7], off offset:512
	s_waitcnt vmcnt(1)
	v_lshlrev_b32_e32 v4, 4, v24
	s_waitcnt vmcnt(0) lgkmcnt(0)
	v_mul_f64 v[6:7], v[10:11], v[2:3]
	v_mul_f64 v[2:3], v[8:9], v[2:3]
	v_fma_f64 v[6:7], v[8:9], v[0:1], v[6:7]
	v_fma_f64 v[2:3], v[0:1], v[10:11], -v[2:3]
	v_mul_f64 v[0:1], v[6:7], s[0:1]
	v_mul_f64 v[2:3], v[2:3], s[0:1]
	global_store_dwordx4 v[16:17], v[0:3], off
	global_load_dwordx4 v[0:3], v4, s[12:13]
	ds_read_b128 v[4:7], v94 offset:6144
	ds_read_b128 v[8:11], v94 offset:7680
	s_waitcnt vmcnt(0) lgkmcnt(1)
	v_mul_f64 v[18:19], v[6:7], v[2:3]
	v_mul_f64 v[2:3], v[4:5], v[2:3]
	v_fma_f64 v[4:5], v[4:5], v[0:1], v[18:19]
	v_fma_f64 v[2:3], v[0:1], v[6:7], -v[2:3]
	v_mad_u64_u32 v[6:7], null, s4, v24, 0
	v_mov_b32_e32 v0, v7
	v_mad_u64_u32 v[18:19], null, s5, v24, v[0:1]
	v_mul_f64 v[0:1], v[4:5], s[0:1]
	v_mul_f64 v[2:3], v[2:3], s[0:1]
	v_mov_b32_e32 v7, v18
	v_lshlrev_b64 v[4:5], 4, v[6:7]
	v_add_co_u32 v4, vcc_lo, v20, v4
	v_add_co_ci_u32_e32 v5, vcc_lo, v21, v5, vcc_lo
	v_add_co_u32 v6, vcc_lo, 0x1800, v22
	v_add_co_ci_u32_e32 v7, vcc_lo, 0, v23, vcc_lo
	v_add_co_u32 v16, vcc_lo, v16, s8
	global_store_dwordx4 v[4:5], v[0:3], off
	global_load_dwordx4 v[0:3], v[6:7], off offset:1536
	v_add_co_ci_u32_e32 v17, vcc_lo, s7, v17, vcc_lo
	s_waitcnt vmcnt(0) lgkmcnt(0)
	v_mul_f64 v[4:5], v[10:11], v[2:3]
	v_mul_f64 v[2:3], v[8:9], v[2:3]
	v_fma_f64 v[4:5], v[8:9], v[0:1], v[4:5]
	v_fma_f64 v[2:3], v[0:1], v[10:11], -v[2:3]
	v_mul_f64 v[0:1], v[4:5], s[0:1]
	v_mul_f64 v[2:3], v[2:3], s[0:1]
	v_add_co_u32 v4, vcc_lo, 0x2000, v22
	v_add_co_ci_u32_e32 v5, vcc_lo, 0, v23, vcc_lo
	global_store_dwordx4 v[16:17], v[0:3], off
	global_load_dwordx4 v[0:3], v[4:5], off offset:1024
	ds_read_b128 v[4:7], v94 offset:9216
	ds_read_b128 v[8:11], v94 offset:10752
	buffer_load_dword v24, off, s[60:63], 0 offset:500 ; 4-byte Folded Reload
	s_waitcnt vmcnt(1) lgkmcnt(1)
	v_mul_f64 v[18:19], v[6:7], v[2:3]
	v_mul_f64 v[2:3], v[4:5], v[2:3]
	v_fma_f64 v[4:5], v[4:5], v[0:1], v[18:19]
	v_fma_f64 v[2:3], v[0:1], v[6:7], -v[2:3]
	v_mul_f64 v[0:1], v[4:5], s[0:1]
	v_mul_f64 v[2:3], v[2:3], s[0:1]
	v_add_co_u32 v4, vcc_lo, v16, s6
	v_add_co_ci_u32_e32 v5, vcc_lo, s3, v17, vcc_lo
	v_add_co_u32 v6, vcc_lo, 0x2800, v22
	v_add_co_ci_u32_e32 v7, vcc_lo, 0, v23, vcc_lo
	v_add_co_u32 v16, vcc_lo, v4, s6
	v_add_co_ci_u32_e32 v17, vcc_lo, s3, v5, vcc_lo
	global_store_dwordx4 v[4:5], v[0:3], off
	global_load_dwordx4 v[0:3], v[6:7], off offset:512
	s_waitcnt vmcnt(1)
	v_lshlrev_b32_e32 v4, 4, v24
	s_waitcnt vmcnt(0) lgkmcnt(0)
	v_mul_f64 v[6:7], v[10:11], v[2:3]
	v_mul_f64 v[2:3], v[8:9], v[2:3]
	v_fma_f64 v[6:7], v[8:9], v[0:1], v[6:7]
	v_fma_f64 v[2:3], v[0:1], v[10:11], -v[2:3]
	v_mul_f64 v[0:1], v[6:7], s[0:1]
	v_mul_f64 v[2:3], v[2:3], s[0:1]
	global_store_dwordx4 v[16:17], v[0:3], off
	global_load_dwordx4 v[0:3], v4, s[12:13]
	ds_read_b128 v[4:7], v94 offset:12288
	ds_read_b128 v[8:11], v94 offset:13824
	s_waitcnt vmcnt(0) lgkmcnt(1)
	v_mul_f64 v[18:19], v[6:7], v[2:3]
	v_mul_f64 v[2:3], v[4:5], v[2:3]
	v_fma_f64 v[4:5], v[4:5], v[0:1], v[18:19]
	v_fma_f64 v[2:3], v[0:1], v[6:7], -v[2:3]
	v_mad_u64_u32 v[6:7], null, s4, v24, 0
	v_mov_b32_e32 v0, v7
	v_mad_u64_u32 v[18:19], null, s5, v24, v[0:1]
	v_mul_f64 v[0:1], v[4:5], s[0:1]
	v_mul_f64 v[2:3], v[2:3], s[0:1]
	v_mov_b32_e32 v7, v18
	v_lshlrev_b64 v[4:5], 4, v[6:7]
	v_add_co_u32 v4, vcc_lo, v20, v4
	v_add_co_ci_u32_e32 v5, vcc_lo, v21, v5, vcc_lo
	v_add_co_u32 v6, vcc_lo, 0x3000, v22
	v_add_co_ci_u32_e32 v7, vcc_lo, 0, v23, vcc_lo
	v_add_co_u32 v16, vcc_lo, v16, s8
	global_store_dwordx4 v[4:5], v[0:3], off
	global_load_dwordx4 v[0:3], v[6:7], off offset:1536
	v_add_co_ci_u32_e32 v17, vcc_lo, s7, v17, vcc_lo
	s_waitcnt vmcnt(0) lgkmcnt(0)
	v_mul_f64 v[4:5], v[10:11], v[2:3]
	v_mul_f64 v[2:3], v[8:9], v[2:3]
	v_fma_f64 v[4:5], v[8:9], v[0:1], v[4:5]
	v_fma_f64 v[2:3], v[0:1], v[10:11], -v[2:3]
	v_mul_f64 v[0:1], v[4:5], s[0:1]
	v_mul_f64 v[2:3], v[2:3], s[0:1]
	v_add_co_u32 v4, vcc_lo, 0x3800, v22
	v_add_co_ci_u32_e32 v5, vcc_lo, 0, v23, vcc_lo
	;; [unrolled: 62-line block ×3, first 2 shown]
	global_store_dwordx4 v[16:17], v[0:3], off
	global_load_dwordx4 v[0:3], v[4:5], off offset:1024
	ds_read_b128 v[4:7], v94 offset:21504
	ds_read_b128 v[8:11], v94 offset:23040
	s_waitcnt vmcnt(0) lgkmcnt(1)
	v_mul_f64 v[18:19], v[6:7], v[2:3]
	v_mul_f64 v[2:3], v[4:5], v[2:3]
	v_fma_f64 v[4:5], v[4:5], v[0:1], v[18:19]
	v_fma_f64 v[2:3], v[0:1], v[6:7], -v[2:3]
	v_mul_f64 v[0:1], v[4:5], s[0:1]
	v_mul_f64 v[2:3], v[2:3], s[0:1]
	v_add_co_u32 v4, vcc_lo, v16, s6
	v_add_co_ci_u32_e32 v5, vcc_lo, s3, v17, vcc_lo
	v_add_co_u32 v6, vcc_lo, 0x5800, v22
	v_add_co_ci_u32_e32 v7, vcc_lo, 0, v23, vcc_lo
	global_store_dwordx4 v[4:5], v[0:3], off
	global_load_dwordx4 v[0:3], v[6:7], off offset:512
	v_add_co_u32 v4, vcc_lo, v4, s6
	v_add_co_ci_u32_e32 v5, vcc_lo, s3, v5, vcc_lo
	s_waitcnt vmcnt(0) lgkmcnt(0)
	v_mul_f64 v[6:7], v[10:11], v[2:3]
	v_mul_f64 v[2:3], v[8:9], v[2:3]
	v_fma_f64 v[6:7], v[8:9], v[0:1], v[6:7]
	buffer_load_dword v8, off, s[60:63], 0 offset:492 ; 4-byte Folded Reload
	v_fma_f64 v[2:3], v[0:1], v[10:11], -v[2:3]
	v_mul_f64 v[0:1], v[6:7], s[0:1]
	v_mul_f64 v[2:3], v[2:3], s[0:1]
	global_store_dwordx4 v[4:5], v[0:3], off
	s_waitcnt vmcnt(0)
	v_lshlrev_b32_e32 v6, 4, v8
	global_load_dwordx4 v[0:3], v6, s[12:13]
	v_mad_u64_u32 v[6:7], null, s4, v8, 0
	s_waitcnt vmcnt(0)
	v_mul_f64 v[4:5], v[14:15], v[2:3]
	v_mul_f64 v[2:3], v[12:13], v[2:3]
	v_fma_f64 v[4:5], v[12:13], v[0:1], v[4:5]
	v_fma_f64 v[2:3], v[0:1], v[14:15], -v[2:3]
	v_mov_b32_e32 v0, v7
	v_mad_u64_u32 v[7:8], null, s5, v8, v[0:1]
	v_mul_f64 v[0:1], v[4:5], s[0:1]
	v_mul_f64 v[2:3], v[2:3], s[0:1]
	v_lshlrev_b64 v[4:5], 4, v[6:7]
	v_add_co_u32 v4, vcc_lo, v20, v4
	v_add_co_ci_u32_e32 v5, vcc_lo, v21, v5, vcc_lo
	global_store_dwordx4 v[4:5], v[0:3], off
.LBB0_23:
	s_endpgm
	.section	.rodata,"a",@progbits
	.p2align	6, 0x0
	.amdhsa_kernel bluestein_single_fwd_len1632_dim1_dp_op_CI_CI
		.amdhsa_group_segment_fixed_size 26112
		.amdhsa_private_segment_fixed_size 544
		.amdhsa_kernarg_size 104
		.amdhsa_user_sgpr_count 6
		.amdhsa_user_sgpr_private_segment_buffer 1
		.amdhsa_user_sgpr_dispatch_ptr 0
		.amdhsa_user_sgpr_queue_ptr 0
		.amdhsa_user_sgpr_kernarg_segment_ptr 1
		.amdhsa_user_sgpr_dispatch_id 0
		.amdhsa_user_sgpr_flat_scratch_init 0
		.amdhsa_user_sgpr_private_segment_size 0
		.amdhsa_wavefront_size32 1
		.amdhsa_uses_dynamic_stack 0
		.amdhsa_system_sgpr_private_segment_wavefront_offset 1
		.amdhsa_system_sgpr_workgroup_id_x 1
		.amdhsa_system_sgpr_workgroup_id_y 0
		.amdhsa_system_sgpr_workgroup_id_z 0
		.amdhsa_system_sgpr_workgroup_info 0
		.amdhsa_system_vgpr_workitem_id 0
		.amdhsa_next_free_vgpr 256
		.amdhsa_next_free_sgpr 64
		.amdhsa_reserve_vcc 1
		.amdhsa_reserve_flat_scratch 0
		.amdhsa_float_round_mode_32 0
		.amdhsa_float_round_mode_16_64 0
		.amdhsa_float_denorm_mode_32 3
		.amdhsa_float_denorm_mode_16_64 3
		.amdhsa_dx10_clamp 1
		.amdhsa_ieee_mode 1
		.amdhsa_fp16_overflow 0
		.amdhsa_workgroup_processor_mode 1
		.amdhsa_memory_ordered 1
		.amdhsa_forward_progress 0
		.amdhsa_shared_vgpr_count 0
		.amdhsa_exception_fp_ieee_invalid_op 0
		.amdhsa_exception_fp_denorm_src 0
		.amdhsa_exception_fp_ieee_div_zero 0
		.amdhsa_exception_fp_ieee_overflow 0
		.amdhsa_exception_fp_ieee_underflow 0
		.amdhsa_exception_fp_ieee_inexact 0
		.amdhsa_exception_int_div_zero 0
	.end_amdhsa_kernel
	.text
.Lfunc_end0:
	.size	bluestein_single_fwd_len1632_dim1_dp_op_CI_CI, .Lfunc_end0-bluestein_single_fwd_len1632_dim1_dp_op_CI_CI
                                        ; -- End function
	.section	.AMDGPU.csdata,"",@progbits
; Kernel info:
; codeLenInByte = 32472
; NumSgprs: 66
; NumVgprs: 256
; ScratchSize: 544
; MemoryBound: 0
; FloatMode: 240
; IeeeMode: 1
; LDSByteSize: 26112 bytes/workgroup (compile time only)
; SGPRBlocks: 8
; VGPRBlocks: 31
; NumSGPRsForWavesPerEU: 66
; NumVGPRsForWavesPerEU: 256
; Occupancy: 4
; WaveLimiterHint : 1
; COMPUTE_PGM_RSRC2:SCRATCH_EN: 1
; COMPUTE_PGM_RSRC2:USER_SGPR: 6
; COMPUTE_PGM_RSRC2:TRAP_HANDLER: 0
; COMPUTE_PGM_RSRC2:TGID_X_EN: 1
; COMPUTE_PGM_RSRC2:TGID_Y_EN: 0
; COMPUTE_PGM_RSRC2:TGID_Z_EN: 0
; COMPUTE_PGM_RSRC2:TIDIG_COMP_CNT: 0
	.text
	.p2alignl 6, 3214868480
	.fill 48, 4, 3214868480
	.type	__hip_cuid_ec9eba3afdaba579,@object ; @__hip_cuid_ec9eba3afdaba579
	.section	.bss,"aw",@nobits
	.globl	__hip_cuid_ec9eba3afdaba579
__hip_cuid_ec9eba3afdaba579:
	.byte	0                               ; 0x0
	.size	__hip_cuid_ec9eba3afdaba579, 1

	.ident	"AMD clang version 19.0.0git (https://github.com/RadeonOpenCompute/llvm-project roc-6.4.0 25133 c7fe45cf4b819c5991fe208aaa96edf142730f1d)"
	.section	".note.GNU-stack","",@progbits
	.addrsig
	.addrsig_sym __hip_cuid_ec9eba3afdaba579
	.amdgpu_metadata
---
amdhsa.kernels:
  - .args:
      - .actual_access:  read_only
        .address_space:  global
        .offset:         0
        .size:           8
        .value_kind:     global_buffer
      - .actual_access:  read_only
        .address_space:  global
        .offset:         8
        .size:           8
        .value_kind:     global_buffer
      - .actual_access:  read_only
        .address_space:  global
        .offset:         16
        .size:           8
        .value_kind:     global_buffer
      - .actual_access:  read_only
        .address_space:  global
        .offset:         24
        .size:           8
        .value_kind:     global_buffer
      - .actual_access:  read_only
        .address_space:  global
        .offset:         32
        .size:           8
        .value_kind:     global_buffer
      - .offset:         40
        .size:           8
        .value_kind:     by_value
      - .address_space:  global
        .offset:         48
        .size:           8
        .value_kind:     global_buffer
      - .address_space:  global
        .offset:         56
        .size:           8
        .value_kind:     global_buffer
      - .address_space:  global
        .offset:         64
        .size:           8
        .value_kind:     global_buffer
      - .address_space:  global
        .offset:         72
        .size:           8
        .value_kind:     global_buffer
      - .offset:         80
        .size:           4
        .value_kind:     by_value
      - .address_space:  global
        .offset:         88
        .size:           8
        .value_kind:     global_buffer
      - .address_space:  global
        .offset:         96
        .size:           8
        .value_kind:     global_buffer
    .group_segment_fixed_size: 26112
    .kernarg_segment_align: 8
    .kernarg_segment_size: 104
    .language:       OpenCL C
    .language_version:
      - 2
      - 0
    .max_flat_workgroup_size: 102
    .name:           bluestein_single_fwd_len1632_dim1_dp_op_CI_CI
    .private_segment_fixed_size: 544
    .sgpr_count:     66
    .sgpr_spill_count: 0
    .symbol:         bluestein_single_fwd_len1632_dim1_dp_op_CI_CI.kd
    .uniform_work_group_size: 1
    .uses_dynamic_stack: false
    .vgpr_count:     256
    .vgpr_spill_count: 139
    .wavefront_size: 32
    .workgroup_processor_mode: 1
amdhsa.target:   amdgcn-amd-amdhsa--gfx1030
amdhsa.version:
  - 1
  - 2
...

	.end_amdgpu_metadata
